;; amdgpu-corpus repo=ROCm/hipCUB kind=compiled arch=gfx942 opt=O3
	.text
	.amdgcn_target "amdgcn-amd-amdhsa--gfx942"
	.amdhsa_code_object_version 6
	.section	.text._Z16warp_load_kernelILj256ELj4ELj32ELN6hipcub17WarpLoadAlgorithmE0EiEvPT3_S3_,"axG",@progbits,_Z16warp_load_kernelILj256ELj4ELj32ELN6hipcub17WarpLoadAlgorithmE0EiEvPT3_S3_,comdat
	.protected	_Z16warp_load_kernelILj256ELj4ELj32ELN6hipcub17WarpLoadAlgorithmE0EiEvPT3_S3_ ; -- Begin function _Z16warp_load_kernelILj256ELj4ELj32ELN6hipcub17WarpLoadAlgorithmE0EiEvPT3_S3_
	.globl	_Z16warp_load_kernelILj256ELj4ELj32ELN6hipcub17WarpLoadAlgorithmE0EiEvPT3_S3_
	.p2align	8
	.type	_Z16warp_load_kernelILj256ELj4ELj32ELN6hipcub17WarpLoadAlgorithmE0EiEvPT3_S3_,@function
_Z16warp_load_kernelILj256ELj4ELj32ELN6hipcub17WarpLoadAlgorithmE0EiEvPT3_S3_: ; @_Z16warp_load_kernelILj256ELj4ELj32ELN6hipcub17WarpLoadAlgorithmE0EiEvPT3_S3_
; %bb.0:
	s_load_dwordx4 s[4:7], s[0:1], 0x0
	v_mbcnt_lo_u32_b32 v1, -1, 0
	v_lshlrev_b32_e32 v4, 2, v0
	v_mbcnt_hi_u32_b32 v1, -1, v1
	s_lshl_b32 s0, s2, 10
	v_and_b32_e32 v4, 0x380, v4
	s_waitcnt lgkmcnt(0)
	v_mov_b32_e32 v2, s4
	v_mov_b32_e32 v3, s5
	v_or_b32_e32 v6, s0, v4
	v_mov_b32_e32 v7, 0
	v_lshlrev_b32_e32 v1, 4, v1
	v_lshl_add_u64 v[2:3], v[6:7], 2, v[2:3]
	v_and_b32_e32 v6, 0x1f0, v1
	v_lshl_add_u64 v[2:3], v[2:3], 0, v[6:7]
	global_load_dwordx4 v[2:5], v[2:3], off
	v_or_b32_e32 v6, s0, v0
	v_mov_b32_e32 v1, v7
	v_mov_b32_e32 v9, v7
	v_lshl_add_u64 v[10:11], v[6:7], 2, s[6:7]
	v_or_b32_e32 v0, 0x100, v6
	v_or_b32_e32 v8, 0x200, v6
	;; [unrolled: 1-line block ×3, first 2 shown]
	v_lshl_add_u64 v[0:1], v[0:1], 2, s[6:7]
	v_lshl_add_u64 v[8:9], v[8:9], 2, s[6:7]
	v_lshl_add_u64 v[6:7], v[6:7], 2, s[6:7]
	s_waitcnt vmcnt(0)
	global_store_dword v[10:11], v2, off
	global_store_dword v[0:1], v3, off
	;; [unrolled: 1-line block ×4, first 2 shown]
	s_endpgm
	.section	.rodata,"a",@progbits
	.p2align	6, 0x0
	.amdhsa_kernel _Z16warp_load_kernelILj256ELj4ELj32ELN6hipcub17WarpLoadAlgorithmE0EiEvPT3_S3_
		.amdhsa_group_segment_fixed_size 0
		.amdhsa_private_segment_fixed_size 0
		.amdhsa_kernarg_size 16
		.amdhsa_user_sgpr_count 2
		.amdhsa_user_sgpr_dispatch_ptr 0
		.amdhsa_user_sgpr_queue_ptr 0
		.amdhsa_user_sgpr_kernarg_segment_ptr 1
		.amdhsa_user_sgpr_dispatch_id 0
		.amdhsa_user_sgpr_kernarg_preload_length 0
		.amdhsa_user_sgpr_kernarg_preload_offset 0
		.amdhsa_user_sgpr_private_segment_size 0
		.amdhsa_uses_dynamic_stack 0
		.amdhsa_enable_private_segment 0
		.amdhsa_system_sgpr_workgroup_id_x 1
		.amdhsa_system_sgpr_workgroup_id_y 0
		.amdhsa_system_sgpr_workgroup_id_z 0
		.amdhsa_system_sgpr_workgroup_info 0
		.amdhsa_system_vgpr_workitem_id 0
		.amdhsa_next_free_vgpr 12
		.amdhsa_next_free_sgpr 8
		.amdhsa_accum_offset 12
		.amdhsa_reserve_vcc 0
		.amdhsa_float_round_mode_32 0
		.amdhsa_float_round_mode_16_64 0
		.amdhsa_float_denorm_mode_32 3
		.amdhsa_float_denorm_mode_16_64 3
		.amdhsa_dx10_clamp 1
		.amdhsa_ieee_mode 1
		.amdhsa_fp16_overflow 0
		.amdhsa_tg_split 0
		.amdhsa_exception_fp_ieee_invalid_op 0
		.amdhsa_exception_fp_denorm_src 0
		.amdhsa_exception_fp_ieee_div_zero 0
		.amdhsa_exception_fp_ieee_overflow 0
		.amdhsa_exception_fp_ieee_underflow 0
		.amdhsa_exception_fp_ieee_inexact 0
		.amdhsa_exception_int_div_zero 0
	.end_amdhsa_kernel
	.section	.text._Z16warp_load_kernelILj256ELj4ELj32ELN6hipcub17WarpLoadAlgorithmE0EiEvPT3_S3_,"axG",@progbits,_Z16warp_load_kernelILj256ELj4ELj32ELN6hipcub17WarpLoadAlgorithmE0EiEvPT3_S3_,comdat
.Lfunc_end0:
	.size	_Z16warp_load_kernelILj256ELj4ELj32ELN6hipcub17WarpLoadAlgorithmE0EiEvPT3_S3_, .Lfunc_end0-_Z16warp_load_kernelILj256ELj4ELj32ELN6hipcub17WarpLoadAlgorithmE0EiEvPT3_S3_
                                        ; -- End function
	.section	.AMDGPU.csdata,"",@progbits
; Kernel info:
; codeLenInByte = 204
; NumSgprs: 14
; NumVgprs: 12
; NumAgprs: 0
; TotalNumVgprs: 12
; ScratchSize: 0
; MemoryBound: 0
; FloatMode: 240
; IeeeMode: 1
; LDSByteSize: 0 bytes/workgroup (compile time only)
; SGPRBlocks: 1
; VGPRBlocks: 1
; NumSGPRsForWavesPerEU: 14
; NumVGPRsForWavesPerEU: 12
; AccumOffset: 12
; Occupancy: 8
; WaveLimiterHint : 0
; COMPUTE_PGM_RSRC2:SCRATCH_EN: 0
; COMPUTE_PGM_RSRC2:USER_SGPR: 2
; COMPUTE_PGM_RSRC2:TRAP_HANDLER: 0
; COMPUTE_PGM_RSRC2:TGID_X_EN: 1
; COMPUTE_PGM_RSRC2:TGID_Y_EN: 0
; COMPUTE_PGM_RSRC2:TGID_Z_EN: 0
; COMPUTE_PGM_RSRC2:TIDIG_COMP_CNT: 0
; COMPUTE_PGM_RSRC3_GFX90A:ACCUM_OFFSET: 2
; COMPUTE_PGM_RSRC3_GFX90A:TG_SPLIT: 0
	.section	.text._Z16warp_load_kernelILj256ELj4ELj32ELN6hipcub17WarpLoadAlgorithmE1EiEvPT3_S3_,"axG",@progbits,_Z16warp_load_kernelILj256ELj4ELj32ELN6hipcub17WarpLoadAlgorithmE1EiEvPT3_S3_,comdat
	.protected	_Z16warp_load_kernelILj256ELj4ELj32ELN6hipcub17WarpLoadAlgorithmE1EiEvPT3_S3_ ; -- Begin function _Z16warp_load_kernelILj256ELj4ELj32ELN6hipcub17WarpLoadAlgorithmE1EiEvPT3_S3_
	.globl	_Z16warp_load_kernelILj256ELj4ELj32ELN6hipcub17WarpLoadAlgorithmE1EiEvPT3_S3_
	.p2align	8
	.type	_Z16warp_load_kernelILj256ELj4ELj32ELN6hipcub17WarpLoadAlgorithmE1EiEvPT3_S3_,@function
_Z16warp_load_kernelILj256ELj4ELj32ELN6hipcub17WarpLoadAlgorithmE1EiEvPT3_S3_: ; @_Z16warp_load_kernelILj256ELj4ELj32ELN6hipcub17WarpLoadAlgorithmE1EiEvPT3_S3_
; %bb.0:
	s_load_dwordx4 s[4:7], s[0:1], 0x0
	v_mbcnt_lo_u32_b32 v1, -1, 0
	v_lshlrev_b32_e32 v4, 2, v0
	v_mbcnt_hi_u32_b32 v1, -1, v1
	s_lshl_b32 s0, s2, 10
	v_and_b32_e32 v4, 0x380, v4
	s_waitcnt lgkmcnt(0)
	v_mov_b32_e32 v2, s4
	v_mov_b32_e32 v3, s5
	v_and_b32_e32 v1, 31, v1
	v_or_b32_e32 v4, s0, v4
	v_mov_b32_e32 v5, 0
	v_lshl_add_u64 v[2:3], v[4:5], 2, v[2:3]
	v_lshlrev_b32_e32 v4, 2, v1
	v_lshl_add_u64 v[2:3], v[2:3], 0, v[4:5]
	global_load_dword v8, v[2:3], off
	global_load_dword v9, v[2:3], off offset:128
	global_load_dword v10, v[2:3], off offset:256
	;; [unrolled: 1-line block ×3, first 2 shown]
	v_or_b32_e32 v4, s0, v0
	v_mov_b32_e32 v1, v5
	v_mov_b32_e32 v3, v5
	v_lshl_add_u64 v[6:7], v[4:5], 2, s[6:7]
	v_or_b32_e32 v0, 0x100, v4
	v_or_b32_e32 v2, 0x200, v4
	;; [unrolled: 1-line block ×3, first 2 shown]
	v_lshl_add_u64 v[0:1], v[0:1], 2, s[6:7]
	v_lshl_add_u64 v[2:3], v[2:3], 2, s[6:7]
	;; [unrolled: 1-line block ×3, first 2 shown]
	s_waitcnt vmcnt(3)
	global_store_dword v[6:7], v8, off
	s_waitcnt vmcnt(3)
	global_store_dword v[0:1], v9, off
	;; [unrolled: 2-line block ×4, first 2 shown]
	s_endpgm
	.section	.rodata,"a",@progbits
	.p2align	6, 0x0
	.amdhsa_kernel _Z16warp_load_kernelILj256ELj4ELj32ELN6hipcub17WarpLoadAlgorithmE1EiEvPT3_S3_
		.amdhsa_group_segment_fixed_size 0
		.amdhsa_private_segment_fixed_size 0
		.amdhsa_kernarg_size 16
		.amdhsa_user_sgpr_count 2
		.amdhsa_user_sgpr_dispatch_ptr 0
		.amdhsa_user_sgpr_queue_ptr 0
		.amdhsa_user_sgpr_kernarg_segment_ptr 1
		.amdhsa_user_sgpr_dispatch_id 0
		.amdhsa_user_sgpr_kernarg_preload_length 0
		.amdhsa_user_sgpr_kernarg_preload_offset 0
		.amdhsa_user_sgpr_private_segment_size 0
		.amdhsa_uses_dynamic_stack 0
		.amdhsa_enable_private_segment 0
		.amdhsa_system_sgpr_workgroup_id_x 1
		.amdhsa_system_sgpr_workgroup_id_y 0
		.amdhsa_system_sgpr_workgroup_id_z 0
		.amdhsa_system_sgpr_workgroup_info 0
		.amdhsa_system_vgpr_workitem_id 0
		.amdhsa_next_free_vgpr 12
		.amdhsa_next_free_sgpr 8
		.amdhsa_accum_offset 12
		.amdhsa_reserve_vcc 0
		.amdhsa_float_round_mode_32 0
		.amdhsa_float_round_mode_16_64 0
		.amdhsa_float_denorm_mode_32 3
		.amdhsa_float_denorm_mode_16_64 3
		.amdhsa_dx10_clamp 1
		.amdhsa_ieee_mode 1
		.amdhsa_fp16_overflow 0
		.amdhsa_tg_split 0
		.amdhsa_exception_fp_ieee_invalid_op 0
		.amdhsa_exception_fp_denorm_src 0
		.amdhsa_exception_fp_ieee_div_zero 0
		.amdhsa_exception_fp_ieee_overflow 0
		.amdhsa_exception_fp_ieee_underflow 0
		.amdhsa_exception_fp_ieee_inexact 0
		.amdhsa_exception_int_div_zero 0
	.end_amdhsa_kernel
	.section	.text._Z16warp_load_kernelILj256ELj4ELj32ELN6hipcub17WarpLoadAlgorithmE1EiEvPT3_S3_,"axG",@progbits,_Z16warp_load_kernelILj256ELj4ELj32ELN6hipcub17WarpLoadAlgorithmE1EiEvPT3_S3_,comdat
.Lfunc_end1:
	.size	_Z16warp_load_kernelILj256ELj4ELj32ELN6hipcub17WarpLoadAlgorithmE1EiEvPT3_S3_, .Lfunc_end1-_Z16warp_load_kernelILj256ELj4ELj32ELN6hipcub17WarpLoadAlgorithmE1EiEvPT3_S3_
                                        ; -- End function
	.section	.AMDGPU.csdata,"",@progbits
; Kernel info:
; codeLenInByte = 236
; NumSgprs: 14
; NumVgprs: 12
; NumAgprs: 0
; TotalNumVgprs: 12
; ScratchSize: 0
; MemoryBound: 0
; FloatMode: 240
; IeeeMode: 1
; LDSByteSize: 0 bytes/workgroup (compile time only)
; SGPRBlocks: 1
; VGPRBlocks: 1
; NumSGPRsForWavesPerEU: 14
; NumVGPRsForWavesPerEU: 12
; AccumOffset: 12
; Occupancy: 8
; WaveLimiterHint : 1
; COMPUTE_PGM_RSRC2:SCRATCH_EN: 0
; COMPUTE_PGM_RSRC2:USER_SGPR: 2
; COMPUTE_PGM_RSRC2:TRAP_HANDLER: 0
; COMPUTE_PGM_RSRC2:TGID_X_EN: 1
; COMPUTE_PGM_RSRC2:TGID_Y_EN: 0
; COMPUTE_PGM_RSRC2:TGID_Z_EN: 0
; COMPUTE_PGM_RSRC2:TIDIG_COMP_CNT: 0
; COMPUTE_PGM_RSRC3_GFX90A:ACCUM_OFFSET: 2
; COMPUTE_PGM_RSRC3_GFX90A:TG_SPLIT: 0
	.section	.text._Z16warp_load_kernelILj256ELj4ELj32ELN6hipcub17WarpLoadAlgorithmE2EiEvPT3_S3_,"axG",@progbits,_Z16warp_load_kernelILj256ELj4ELj32ELN6hipcub17WarpLoadAlgorithmE2EiEvPT3_S3_,comdat
	.protected	_Z16warp_load_kernelILj256ELj4ELj32ELN6hipcub17WarpLoadAlgorithmE2EiEvPT3_S3_ ; -- Begin function _Z16warp_load_kernelILj256ELj4ELj32ELN6hipcub17WarpLoadAlgorithmE2EiEvPT3_S3_
	.globl	_Z16warp_load_kernelILj256ELj4ELj32ELN6hipcub17WarpLoadAlgorithmE2EiEvPT3_S3_
	.p2align	8
	.type	_Z16warp_load_kernelILj256ELj4ELj32ELN6hipcub17WarpLoadAlgorithmE2EiEvPT3_S3_,@function
_Z16warp_load_kernelILj256ELj4ELj32ELN6hipcub17WarpLoadAlgorithmE2EiEvPT3_S3_: ; @_Z16warp_load_kernelILj256ELj4ELj32ELN6hipcub17WarpLoadAlgorithmE2EiEvPT3_S3_
; %bb.0:
	s_load_dwordx4 s[4:7], s[0:1], 0x0
	v_mbcnt_lo_u32_b32 v1, -1, 0
	v_lshlrev_b32_e32 v4, 2, v0
	v_mbcnt_hi_u32_b32 v1, -1, v1
	s_lshl_b32 s0, s2, 10
	v_and_b32_e32 v4, 0x380, v4
	s_waitcnt lgkmcnt(0)
	v_mov_b32_e32 v2, s4
	v_mov_b32_e32 v3, s5
	v_and_b32_e32 v1, 31, v1
	v_or_b32_e32 v6, s0, v4
	v_mov_b32_e32 v7, 0
	v_lshl_add_u64 v[2:3], v[6:7], 2, v[2:3]
	v_lshlrev_b32_e32 v6, 4, v1
	v_lshl_add_u64 v[2:3], v[2:3], 0, v[6:7]
	global_load_dwordx4 v[2:5], v[2:3], off
	v_or_b32_e32 v6, s0, v0
	v_mov_b32_e32 v1, v7
	v_mov_b32_e32 v9, v7
	v_lshl_add_u64 v[10:11], v[6:7], 2, s[6:7]
	v_or_b32_e32 v0, 0x100, v6
	v_or_b32_e32 v8, 0x200, v6
	;; [unrolled: 1-line block ×3, first 2 shown]
	v_lshl_add_u64 v[0:1], v[0:1], 2, s[6:7]
	v_lshl_add_u64 v[8:9], v[8:9], 2, s[6:7]
	;; [unrolled: 1-line block ×3, first 2 shown]
	s_waitcnt vmcnt(0)
	global_store_dword v[10:11], v2, off
	global_store_dword v[0:1], v3, off
	;; [unrolled: 1-line block ×4, first 2 shown]
	s_endpgm
	.section	.rodata,"a",@progbits
	.p2align	6, 0x0
	.amdhsa_kernel _Z16warp_load_kernelILj256ELj4ELj32ELN6hipcub17WarpLoadAlgorithmE2EiEvPT3_S3_
		.amdhsa_group_segment_fixed_size 0
		.amdhsa_private_segment_fixed_size 0
		.amdhsa_kernarg_size 16
		.amdhsa_user_sgpr_count 2
		.amdhsa_user_sgpr_dispatch_ptr 0
		.amdhsa_user_sgpr_queue_ptr 0
		.amdhsa_user_sgpr_kernarg_segment_ptr 1
		.amdhsa_user_sgpr_dispatch_id 0
		.amdhsa_user_sgpr_kernarg_preload_length 0
		.amdhsa_user_sgpr_kernarg_preload_offset 0
		.amdhsa_user_sgpr_private_segment_size 0
		.amdhsa_uses_dynamic_stack 0
		.amdhsa_enable_private_segment 0
		.amdhsa_system_sgpr_workgroup_id_x 1
		.amdhsa_system_sgpr_workgroup_id_y 0
		.amdhsa_system_sgpr_workgroup_id_z 0
		.amdhsa_system_sgpr_workgroup_info 0
		.amdhsa_system_vgpr_workitem_id 0
		.amdhsa_next_free_vgpr 12
		.amdhsa_next_free_sgpr 8
		.amdhsa_accum_offset 12
		.amdhsa_reserve_vcc 0
		.amdhsa_float_round_mode_32 0
		.amdhsa_float_round_mode_16_64 0
		.amdhsa_float_denorm_mode_32 3
		.amdhsa_float_denorm_mode_16_64 3
		.amdhsa_dx10_clamp 1
		.amdhsa_ieee_mode 1
		.amdhsa_fp16_overflow 0
		.amdhsa_tg_split 0
		.amdhsa_exception_fp_ieee_invalid_op 0
		.amdhsa_exception_fp_denorm_src 0
		.amdhsa_exception_fp_ieee_div_zero 0
		.amdhsa_exception_fp_ieee_overflow 0
		.amdhsa_exception_fp_ieee_underflow 0
		.amdhsa_exception_fp_ieee_inexact 0
		.amdhsa_exception_int_div_zero 0
	.end_amdhsa_kernel
	.section	.text._Z16warp_load_kernelILj256ELj4ELj32ELN6hipcub17WarpLoadAlgorithmE2EiEvPT3_S3_,"axG",@progbits,_Z16warp_load_kernelILj256ELj4ELj32ELN6hipcub17WarpLoadAlgorithmE2EiEvPT3_S3_,comdat
.Lfunc_end2:
	.size	_Z16warp_load_kernelILj256ELj4ELj32ELN6hipcub17WarpLoadAlgorithmE2EiEvPT3_S3_, .Lfunc_end2-_Z16warp_load_kernelILj256ELj4ELj32ELN6hipcub17WarpLoadAlgorithmE2EiEvPT3_S3_
                                        ; -- End function
	.section	.AMDGPU.csdata,"",@progbits
; Kernel info:
; codeLenInByte = 200
; NumSgprs: 14
; NumVgprs: 12
; NumAgprs: 0
; TotalNumVgprs: 12
; ScratchSize: 0
; MemoryBound: 0
; FloatMode: 240
; IeeeMode: 1
; LDSByteSize: 0 bytes/workgroup (compile time only)
; SGPRBlocks: 1
; VGPRBlocks: 1
; NumSGPRsForWavesPerEU: 14
; NumVGPRsForWavesPerEU: 12
; AccumOffset: 12
; Occupancy: 8
; WaveLimiterHint : 0
; COMPUTE_PGM_RSRC2:SCRATCH_EN: 0
; COMPUTE_PGM_RSRC2:USER_SGPR: 2
; COMPUTE_PGM_RSRC2:TRAP_HANDLER: 0
; COMPUTE_PGM_RSRC2:TGID_X_EN: 1
; COMPUTE_PGM_RSRC2:TGID_Y_EN: 0
; COMPUTE_PGM_RSRC2:TGID_Z_EN: 0
; COMPUTE_PGM_RSRC2:TIDIG_COMP_CNT: 0
; COMPUTE_PGM_RSRC3_GFX90A:ACCUM_OFFSET: 2
; COMPUTE_PGM_RSRC3_GFX90A:TG_SPLIT: 0
	.section	.text._Z16warp_load_kernelILj256ELj4ELj32ELN6hipcub17WarpLoadAlgorithmE3EiEvPT3_S3_,"axG",@progbits,_Z16warp_load_kernelILj256ELj4ELj32ELN6hipcub17WarpLoadAlgorithmE3EiEvPT3_S3_,comdat
	.protected	_Z16warp_load_kernelILj256ELj4ELj32ELN6hipcub17WarpLoadAlgorithmE3EiEvPT3_S3_ ; -- Begin function _Z16warp_load_kernelILj256ELj4ELj32ELN6hipcub17WarpLoadAlgorithmE3EiEvPT3_S3_
	.globl	_Z16warp_load_kernelILj256ELj4ELj32ELN6hipcub17WarpLoadAlgorithmE3EiEvPT3_S3_
	.p2align	8
	.type	_Z16warp_load_kernelILj256ELj4ELj32ELN6hipcub17WarpLoadAlgorithmE3EiEvPT3_S3_,@function
_Z16warp_load_kernelILj256ELj4ELj32ELN6hipcub17WarpLoadAlgorithmE3EiEvPT3_S3_: ; @_Z16warp_load_kernelILj256ELj4ELj32ELN6hipcub17WarpLoadAlgorithmE3EiEvPT3_S3_
; %bb.0:
	s_load_dwordx4 s[4:7], s[0:1], 0x0
	v_mbcnt_lo_u32_b32 v4, -1, 0
	v_lshrrev_b32_e32 v1, 5, v0
	v_mbcnt_hi_u32_b32 v4, -1, v4
	s_lshl_b32 s0, s2, 10
	s_waitcnt lgkmcnt(0)
	v_mov_b32_e32 v2, s4
	v_mov_b32_e32 v3, s5
	v_and_b32_e32 v6, 31, v4
	v_lshl_or_b32 v4, v1, 7, s0
	v_mov_b32_e32 v5, 0
	v_lshl_add_u64 v[2:3], v[4:5], 2, v[2:3]
	v_lshlrev_b32_e32 v4, 2, v6
	v_lshl_add_u64 v[2:3], v[2:3], 0, v[4:5]
	global_load_dword v12, v[2:3], off
	global_load_dword v13, v[2:3], off offset:128
	global_load_dword v14, v[2:3], off offset:256
	;; [unrolled: 1-line block ×3, first 2 shown]
	v_lshl_or_b32 v1, v1, 9, v4
	v_or_b32_e32 v4, s0, v0
	v_mad_u32_u24 v0, v6, 12, v1
	v_mov_b32_e32 v7, v5
	v_mov_b32_e32 v9, v5
	v_lshl_add_u64 v[10:11], v[4:5], 2, s[6:7]
	v_or_b32_e32 v6, 0x100, v4
	v_or_b32_e32 v8, 0x200, v4
	;; [unrolled: 1-line block ×3, first 2 shown]
	v_lshl_add_u64 v[6:7], v[6:7], 2, s[6:7]
	v_lshl_add_u64 v[8:9], v[8:9], 2, s[6:7]
	;; [unrolled: 1-line block ×3, first 2 shown]
	s_waitcnt vmcnt(2)
	ds_write2_b32 v1, v12, v13 offset1:32
	s_waitcnt vmcnt(0)
	ds_write2_b32 v1, v14, v15 offset0:64 offset1:96
	; wave barrier
	ds_read_b128 v[0:3], v0
	s_waitcnt lgkmcnt(0)
	global_store_dword v[10:11], v0, off
	global_store_dword v[6:7], v1, off
	global_store_dword v[8:9], v2, off
	global_store_dword v[4:5], v3, off
	s_endpgm
	.section	.rodata,"a",@progbits
	.p2align	6, 0x0
	.amdhsa_kernel _Z16warp_load_kernelILj256ELj4ELj32ELN6hipcub17WarpLoadAlgorithmE3EiEvPT3_S3_
		.amdhsa_group_segment_fixed_size 4096
		.amdhsa_private_segment_fixed_size 0
		.amdhsa_kernarg_size 16
		.amdhsa_user_sgpr_count 2
		.amdhsa_user_sgpr_dispatch_ptr 0
		.amdhsa_user_sgpr_queue_ptr 0
		.amdhsa_user_sgpr_kernarg_segment_ptr 1
		.amdhsa_user_sgpr_dispatch_id 0
		.amdhsa_user_sgpr_kernarg_preload_length 0
		.amdhsa_user_sgpr_kernarg_preload_offset 0
		.amdhsa_user_sgpr_private_segment_size 0
		.amdhsa_uses_dynamic_stack 0
		.amdhsa_enable_private_segment 0
		.amdhsa_system_sgpr_workgroup_id_x 1
		.amdhsa_system_sgpr_workgroup_id_y 0
		.amdhsa_system_sgpr_workgroup_id_z 0
		.amdhsa_system_sgpr_workgroup_info 0
		.amdhsa_system_vgpr_workitem_id 0
		.amdhsa_next_free_vgpr 16
		.amdhsa_next_free_sgpr 8
		.amdhsa_accum_offset 16
		.amdhsa_reserve_vcc 0
		.amdhsa_float_round_mode_32 0
		.amdhsa_float_round_mode_16_64 0
		.amdhsa_float_denorm_mode_32 3
		.amdhsa_float_denorm_mode_16_64 3
		.amdhsa_dx10_clamp 1
		.amdhsa_ieee_mode 1
		.amdhsa_fp16_overflow 0
		.amdhsa_tg_split 0
		.amdhsa_exception_fp_ieee_invalid_op 0
		.amdhsa_exception_fp_denorm_src 0
		.amdhsa_exception_fp_ieee_div_zero 0
		.amdhsa_exception_fp_ieee_overflow 0
		.amdhsa_exception_fp_ieee_underflow 0
		.amdhsa_exception_fp_ieee_inexact 0
		.amdhsa_exception_int_div_zero 0
	.end_amdhsa_kernel
	.section	.text._Z16warp_load_kernelILj256ELj4ELj32ELN6hipcub17WarpLoadAlgorithmE3EiEvPT3_S3_,"axG",@progbits,_Z16warp_load_kernelILj256ELj4ELj32ELN6hipcub17WarpLoadAlgorithmE3EiEvPT3_S3_,comdat
.Lfunc_end3:
	.size	_Z16warp_load_kernelILj256ELj4ELj32ELN6hipcub17WarpLoadAlgorithmE3EiEvPT3_S3_, .Lfunc_end3-_Z16warp_load_kernelILj256ELj4ELj32ELN6hipcub17WarpLoadAlgorithmE3EiEvPT3_S3_
                                        ; -- End function
	.section	.AMDGPU.csdata,"",@progbits
; Kernel info:
; codeLenInByte = 268
; NumSgprs: 14
; NumVgprs: 16
; NumAgprs: 0
; TotalNumVgprs: 16
; ScratchSize: 0
; MemoryBound: 0
; FloatMode: 240
; IeeeMode: 1
; LDSByteSize: 4096 bytes/workgroup (compile time only)
; SGPRBlocks: 1
; VGPRBlocks: 1
; NumSGPRsForWavesPerEU: 14
; NumVGPRsForWavesPerEU: 16
; AccumOffset: 16
; Occupancy: 8
; WaveLimiterHint : 1
; COMPUTE_PGM_RSRC2:SCRATCH_EN: 0
; COMPUTE_PGM_RSRC2:USER_SGPR: 2
; COMPUTE_PGM_RSRC2:TRAP_HANDLER: 0
; COMPUTE_PGM_RSRC2:TGID_X_EN: 1
; COMPUTE_PGM_RSRC2:TGID_Y_EN: 0
; COMPUTE_PGM_RSRC2:TGID_Z_EN: 0
; COMPUTE_PGM_RSRC2:TIDIG_COMP_CNT: 0
; COMPUTE_PGM_RSRC3_GFX90A:ACCUM_OFFSET: 3
; COMPUTE_PGM_RSRC3_GFX90A:TG_SPLIT: 0
	.section	.text._Z16warp_load_kernelILj256ELj8ELj32ELN6hipcub17WarpLoadAlgorithmE0EiEvPT3_S3_,"axG",@progbits,_Z16warp_load_kernelILj256ELj8ELj32ELN6hipcub17WarpLoadAlgorithmE0EiEvPT3_S3_,comdat
	.protected	_Z16warp_load_kernelILj256ELj8ELj32ELN6hipcub17WarpLoadAlgorithmE0EiEvPT3_S3_ ; -- Begin function _Z16warp_load_kernelILj256ELj8ELj32ELN6hipcub17WarpLoadAlgorithmE0EiEvPT3_S3_
	.globl	_Z16warp_load_kernelILj256ELj8ELj32ELN6hipcub17WarpLoadAlgorithmE0EiEvPT3_S3_
	.p2align	8
	.type	_Z16warp_load_kernelILj256ELj8ELj32ELN6hipcub17WarpLoadAlgorithmE0EiEvPT3_S3_,@function
_Z16warp_load_kernelILj256ELj8ELj32ELN6hipcub17WarpLoadAlgorithmE0EiEvPT3_S3_: ; @_Z16warp_load_kernelILj256ELj8ELj32ELN6hipcub17WarpLoadAlgorithmE0EiEvPT3_S3_
; %bb.0:
	s_load_dwordx4 s[4:7], s[0:1], 0x0
	v_mbcnt_lo_u32_b32 v1, -1, 0
	v_lshlrev_b32_e32 v4, 3, v0
	v_mbcnt_hi_u32_b32 v1, -1, v1
	s_lshl_b32 s0, s2, 11
	v_and_b32_e32 v4, 0x700, v4
	s_waitcnt lgkmcnt(0)
	v_mov_b32_e32 v2, s4
	v_mov_b32_e32 v3, s5
	v_or_b32_e32 v10, s0, v4
	v_mov_b32_e32 v11, 0
	v_lshlrev_b32_e32 v1, 5, v1
	v_lshl_add_u64 v[2:3], v[10:11], 2, v[2:3]
	v_and_b32_e32 v10, 0x3e0, v1
	v_lshl_add_u64 v[12:13], v[2:3], 0, v[10:11]
	global_load_dwordx4 v[2:5], v[12:13], off
	global_load_dwordx4 v[6:9], v[12:13], off offset:16
	v_or_b32_e32 v10, s0, v0
	v_mov_b32_e32 v1, v11
	v_mov_b32_e32 v13, v11
	;; [unrolled: 1-line block ×3, first 2 shown]
	v_lshl_add_u64 v[16:17], v[10:11], 2, s[6:7]
	v_or_b32_e32 v0, 0x400, v10
	v_or_b32_e32 v12, 0x500, v10
	;; [unrolled: 1-line block ×4, first 2 shown]
	v_lshl_add_u64 v[0:1], v[0:1], 2, s[6:7]
	v_lshl_add_u64 v[12:13], v[12:13], 2, s[6:7]
	;; [unrolled: 1-line block ×4, first 2 shown]
	s_waitcnt vmcnt(1)
	global_store_dword v[16:17], v2, off
	global_store_dword v[16:17], v3, off offset:1024
	global_store_dword v[16:17], v4, off offset:2048
	;; [unrolled: 1-line block ×3, first 2 shown]
	s_waitcnt vmcnt(4)
	global_store_dword v[0:1], v6, off
	global_store_dword v[12:13], v7, off
	;; [unrolled: 1-line block ×4, first 2 shown]
	s_endpgm
	.section	.rodata,"a",@progbits
	.p2align	6, 0x0
	.amdhsa_kernel _Z16warp_load_kernelILj256ELj8ELj32ELN6hipcub17WarpLoadAlgorithmE0EiEvPT3_S3_
		.amdhsa_group_segment_fixed_size 0
		.amdhsa_private_segment_fixed_size 0
		.amdhsa_kernarg_size 16
		.amdhsa_user_sgpr_count 2
		.amdhsa_user_sgpr_dispatch_ptr 0
		.amdhsa_user_sgpr_queue_ptr 0
		.amdhsa_user_sgpr_kernarg_segment_ptr 1
		.amdhsa_user_sgpr_dispatch_id 0
		.amdhsa_user_sgpr_kernarg_preload_length 0
		.amdhsa_user_sgpr_kernarg_preload_offset 0
		.amdhsa_user_sgpr_private_segment_size 0
		.amdhsa_uses_dynamic_stack 0
		.amdhsa_enable_private_segment 0
		.amdhsa_system_sgpr_workgroup_id_x 1
		.amdhsa_system_sgpr_workgroup_id_y 0
		.amdhsa_system_sgpr_workgroup_id_z 0
		.amdhsa_system_sgpr_workgroup_info 0
		.amdhsa_system_vgpr_workitem_id 0
		.amdhsa_next_free_vgpr 18
		.amdhsa_next_free_sgpr 8
		.amdhsa_accum_offset 20
		.amdhsa_reserve_vcc 0
		.amdhsa_float_round_mode_32 0
		.amdhsa_float_round_mode_16_64 0
		.amdhsa_float_denorm_mode_32 3
		.amdhsa_float_denorm_mode_16_64 3
		.amdhsa_dx10_clamp 1
		.amdhsa_ieee_mode 1
		.amdhsa_fp16_overflow 0
		.amdhsa_tg_split 0
		.amdhsa_exception_fp_ieee_invalid_op 0
		.amdhsa_exception_fp_denorm_src 0
		.amdhsa_exception_fp_ieee_div_zero 0
		.amdhsa_exception_fp_ieee_overflow 0
		.amdhsa_exception_fp_ieee_underflow 0
		.amdhsa_exception_fp_ieee_inexact 0
		.amdhsa_exception_int_div_zero 0
	.end_amdhsa_kernel
	.section	.text._Z16warp_load_kernelILj256ELj8ELj32ELN6hipcub17WarpLoadAlgorithmE0EiEvPT3_S3_,"axG",@progbits,_Z16warp_load_kernelILj256ELj8ELj32ELN6hipcub17WarpLoadAlgorithmE0EiEvPT3_S3_,comdat
.Lfunc_end4:
	.size	_Z16warp_load_kernelILj256ELj8ELj32ELN6hipcub17WarpLoadAlgorithmE0EiEvPT3_S3_, .Lfunc_end4-_Z16warp_load_kernelILj256ELj8ELj32ELN6hipcub17WarpLoadAlgorithmE0EiEvPT3_S3_
                                        ; -- End function
	.section	.AMDGPU.csdata,"",@progbits
; Kernel info:
; codeLenInByte = 268
; NumSgprs: 14
; NumVgprs: 18
; NumAgprs: 0
; TotalNumVgprs: 18
; ScratchSize: 0
; MemoryBound: 0
; FloatMode: 240
; IeeeMode: 1
; LDSByteSize: 0 bytes/workgroup (compile time only)
; SGPRBlocks: 1
; VGPRBlocks: 2
; NumSGPRsForWavesPerEU: 14
; NumVGPRsForWavesPerEU: 18
; AccumOffset: 20
; Occupancy: 8
; WaveLimiterHint : 1
; COMPUTE_PGM_RSRC2:SCRATCH_EN: 0
; COMPUTE_PGM_RSRC2:USER_SGPR: 2
; COMPUTE_PGM_RSRC2:TRAP_HANDLER: 0
; COMPUTE_PGM_RSRC2:TGID_X_EN: 1
; COMPUTE_PGM_RSRC2:TGID_Y_EN: 0
; COMPUTE_PGM_RSRC2:TGID_Z_EN: 0
; COMPUTE_PGM_RSRC2:TIDIG_COMP_CNT: 0
; COMPUTE_PGM_RSRC3_GFX90A:ACCUM_OFFSET: 4
; COMPUTE_PGM_RSRC3_GFX90A:TG_SPLIT: 0
	.section	.text._Z16warp_load_kernelILj256ELj8ELj32ELN6hipcub17WarpLoadAlgorithmE1EiEvPT3_S3_,"axG",@progbits,_Z16warp_load_kernelILj256ELj8ELj32ELN6hipcub17WarpLoadAlgorithmE1EiEvPT3_S3_,comdat
	.protected	_Z16warp_load_kernelILj256ELj8ELj32ELN6hipcub17WarpLoadAlgorithmE1EiEvPT3_S3_ ; -- Begin function _Z16warp_load_kernelILj256ELj8ELj32ELN6hipcub17WarpLoadAlgorithmE1EiEvPT3_S3_
	.globl	_Z16warp_load_kernelILj256ELj8ELj32ELN6hipcub17WarpLoadAlgorithmE1EiEvPT3_S3_
	.p2align	8
	.type	_Z16warp_load_kernelILj256ELj8ELj32ELN6hipcub17WarpLoadAlgorithmE1EiEvPT3_S3_,@function
_Z16warp_load_kernelILj256ELj8ELj32ELN6hipcub17WarpLoadAlgorithmE1EiEvPT3_S3_: ; @_Z16warp_load_kernelILj256ELj8ELj32ELN6hipcub17WarpLoadAlgorithmE1EiEvPT3_S3_
; %bb.0:
	s_load_dwordx4 s[4:7], s[0:1], 0x0
	v_mbcnt_lo_u32_b32 v1, -1, 0
	v_lshlrev_b32_e32 v4, 3, v0
	v_mbcnt_hi_u32_b32 v1, -1, v1
	s_lshl_b32 s0, s2, 11
	v_and_b32_e32 v4, 0x700, v4
	s_waitcnt lgkmcnt(0)
	v_mov_b32_e32 v2, s4
	v_mov_b32_e32 v3, s5
	v_and_b32_e32 v1, 31, v1
	v_or_b32_e32 v4, s0, v4
	v_mov_b32_e32 v5, 0
	v_lshl_add_u64 v[2:3], v[4:5], 2, v[2:3]
	v_lshlrev_b32_e32 v4, 2, v1
	v_lshl_add_u64 v[2:3], v[2:3], 0, v[4:5]
	global_load_dword v10, v[2:3], off
	global_load_dword v11, v[2:3], off offset:128
	global_load_dword v12, v[2:3], off offset:256
	;; [unrolled: 1-line block ×7, first 2 shown]
	v_or_b32_e32 v4, s0, v0
	v_mov_b32_e32 v1, v5
	v_mov_b32_e32 v3, v5
	;; [unrolled: 1-line block ×3, first 2 shown]
	v_lshl_add_u64 v[8:9], v[4:5], 2, s[6:7]
	v_or_b32_e32 v0, 0x400, v4
	v_or_b32_e32 v2, 0x500, v4
	;; [unrolled: 1-line block ×4, first 2 shown]
	v_lshl_add_u64 v[0:1], v[0:1], 2, s[6:7]
	v_lshl_add_u64 v[2:3], v[2:3], 2, s[6:7]
	;; [unrolled: 1-line block ×4, first 2 shown]
	s_waitcnt vmcnt(7)
	global_store_dword v[8:9], v10, off
	s_waitcnt vmcnt(7)
	global_store_dword v[8:9], v11, off offset:1024
	s_waitcnt vmcnt(7)
	global_store_dword v[8:9], v12, off offset:2048
	;; [unrolled: 2-line block ×3, first 2 shown]
	s_waitcnt vmcnt(7)
	global_store_dword v[0:1], v14, off
	s_waitcnt vmcnt(7)
	global_store_dword v[2:3], v15, off
	s_waitcnt vmcnt(7)
	global_store_dword v[6:7], v16, off
	s_waitcnt vmcnt(7)
	global_store_dword v[4:5], v17, off
	s_endpgm
	.section	.rodata,"a",@progbits
	.p2align	6, 0x0
	.amdhsa_kernel _Z16warp_load_kernelILj256ELj8ELj32ELN6hipcub17WarpLoadAlgorithmE1EiEvPT3_S3_
		.amdhsa_group_segment_fixed_size 0
		.amdhsa_private_segment_fixed_size 0
		.amdhsa_kernarg_size 16
		.amdhsa_user_sgpr_count 2
		.amdhsa_user_sgpr_dispatch_ptr 0
		.amdhsa_user_sgpr_queue_ptr 0
		.amdhsa_user_sgpr_kernarg_segment_ptr 1
		.amdhsa_user_sgpr_dispatch_id 0
		.amdhsa_user_sgpr_kernarg_preload_length 0
		.amdhsa_user_sgpr_kernarg_preload_offset 0
		.amdhsa_user_sgpr_private_segment_size 0
		.amdhsa_uses_dynamic_stack 0
		.amdhsa_enable_private_segment 0
		.amdhsa_system_sgpr_workgroup_id_x 1
		.amdhsa_system_sgpr_workgroup_id_y 0
		.amdhsa_system_sgpr_workgroup_id_z 0
		.amdhsa_system_sgpr_workgroup_info 0
		.amdhsa_system_vgpr_workitem_id 0
		.amdhsa_next_free_vgpr 18
		.amdhsa_next_free_sgpr 8
		.amdhsa_accum_offset 20
		.amdhsa_reserve_vcc 0
		.amdhsa_float_round_mode_32 0
		.amdhsa_float_round_mode_16_64 0
		.amdhsa_float_denorm_mode_32 3
		.amdhsa_float_denorm_mode_16_64 3
		.amdhsa_dx10_clamp 1
		.amdhsa_ieee_mode 1
		.amdhsa_fp16_overflow 0
		.amdhsa_tg_split 0
		.amdhsa_exception_fp_ieee_invalid_op 0
		.amdhsa_exception_fp_denorm_src 0
		.amdhsa_exception_fp_ieee_div_zero 0
		.amdhsa_exception_fp_ieee_overflow 0
		.amdhsa_exception_fp_ieee_underflow 0
		.amdhsa_exception_fp_ieee_inexact 0
		.amdhsa_exception_int_div_zero 0
	.end_amdhsa_kernel
	.section	.text._Z16warp_load_kernelILj256ELj8ELj32ELN6hipcub17WarpLoadAlgorithmE1EiEvPT3_S3_,"axG",@progbits,_Z16warp_load_kernelILj256ELj8ELj32ELN6hipcub17WarpLoadAlgorithmE1EiEvPT3_S3_,comdat
.Lfunc_end5:
	.size	_Z16warp_load_kernelILj256ELj8ELj32ELN6hipcub17WarpLoadAlgorithmE1EiEvPT3_S3_, .Lfunc_end5-_Z16warp_load_kernelILj256ELj8ELj32ELN6hipcub17WarpLoadAlgorithmE1EiEvPT3_S3_
                                        ; -- End function
	.section	.AMDGPU.csdata,"",@progbits
; Kernel info:
; codeLenInByte = 336
; NumSgprs: 14
; NumVgprs: 18
; NumAgprs: 0
; TotalNumVgprs: 18
; ScratchSize: 0
; MemoryBound: 0
; FloatMode: 240
; IeeeMode: 1
; LDSByteSize: 0 bytes/workgroup (compile time only)
; SGPRBlocks: 1
; VGPRBlocks: 2
; NumSGPRsForWavesPerEU: 14
; NumVGPRsForWavesPerEU: 18
; AccumOffset: 20
; Occupancy: 8
; WaveLimiterHint : 1
; COMPUTE_PGM_RSRC2:SCRATCH_EN: 0
; COMPUTE_PGM_RSRC2:USER_SGPR: 2
; COMPUTE_PGM_RSRC2:TRAP_HANDLER: 0
; COMPUTE_PGM_RSRC2:TGID_X_EN: 1
; COMPUTE_PGM_RSRC2:TGID_Y_EN: 0
; COMPUTE_PGM_RSRC2:TGID_Z_EN: 0
; COMPUTE_PGM_RSRC2:TIDIG_COMP_CNT: 0
; COMPUTE_PGM_RSRC3_GFX90A:ACCUM_OFFSET: 4
; COMPUTE_PGM_RSRC3_GFX90A:TG_SPLIT: 0
	.section	.text._Z16warp_load_kernelILj256ELj8ELj32ELN6hipcub17WarpLoadAlgorithmE2EiEvPT3_S3_,"axG",@progbits,_Z16warp_load_kernelILj256ELj8ELj32ELN6hipcub17WarpLoadAlgorithmE2EiEvPT3_S3_,comdat
	.protected	_Z16warp_load_kernelILj256ELj8ELj32ELN6hipcub17WarpLoadAlgorithmE2EiEvPT3_S3_ ; -- Begin function _Z16warp_load_kernelILj256ELj8ELj32ELN6hipcub17WarpLoadAlgorithmE2EiEvPT3_S3_
	.globl	_Z16warp_load_kernelILj256ELj8ELj32ELN6hipcub17WarpLoadAlgorithmE2EiEvPT3_S3_
	.p2align	8
	.type	_Z16warp_load_kernelILj256ELj8ELj32ELN6hipcub17WarpLoadAlgorithmE2EiEvPT3_S3_,@function
_Z16warp_load_kernelILj256ELj8ELj32ELN6hipcub17WarpLoadAlgorithmE2EiEvPT3_S3_: ; @_Z16warp_load_kernelILj256ELj8ELj32ELN6hipcub17WarpLoadAlgorithmE2EiEvPT3_S3_
; %bb.0:
	s_load_dwordx4 s[4:7], s[0:1], 0x0
	v_mbcnt_lo_u32_b32 v1, -1, 0
	v_lshlrev_b32_e32 v4, 3, v0
	v_mbcnt_hi_u32_b32 v1, -1, v1
	s_lshl_b32 s0, s2, 11
	v_and_b32_e32 v4, 0x700, v4
	s_waitcnt lgkmcnt(0)
	v_mov_b32_e32 v2, s4
	v_mov_b32_e32 v3, s5
	v_or_b32_e32 v10, s0, v4
	v_mov_b32_e32 v11, 0
	v_lshlrev_b32_e32 v1, 5, v1
	v_lshl_add_u64 v[2:3], v[10:11], 2, v[2:3]
	v_and_b32_e32 v10, 0x3e0, v1
	v_lshl_add_u64 v[12:13], v[2:3], 0, v[10:11]
	global_load_dwordx4 v[2:5], v[12:13], off
	global_load_dwordx4 v[6:9], v[12:13], off offset:16
	v_or_b32_e32 v10, s0, v0
	v_mov_b32_e32 v1, v11
	v_mov_b32_e32 v13, v11
	;; [unrolled: 1-line block ×3, first 2 shown]
	v_lshl_add_u64 v[16:17], v[10:11], 2, s[6:7]
	v_or_b32_e32 v0, 0x400, v10
	v_or_b32_e32 v12, 0x500, v10
	;; [unrolled: 1-line block ×4, first 2 shown]
	v_lshl_add_u64 v[0:1], v[0:1], 2, s[6:7]
	v_lshl_add_u64 v[12:13], v[12:13], 2, s[6:7]
	;; [unrolled: 1-line block ×4, first 2 shown]
	s_waitcnt vmcnt(1)
	global_store_dword v[16:17], v2, off
	global_store_dword v[16:17], v3, off offset:1024
	global_store_dword v[16:17], v4, off offset:2048
	;; [unrolled: 1-line block ×3, first 2 shown]
	s_waitcnt vmcnt(4)
	global_store_dword v[0:1], v6, off
	global_store_dword v[12:13], v7, off
	;; [unrolled: 1-line block ×4, first 2 shown]
	s_endpgm
	.section	.rodata,"a",@progbits
	.p2align	6, 0x0
	.amdhsa_kernel _Z16warp_load_kernelILj256ELj8ELj32ELN6hipcub17WarpLoadAlgorithmE2EiEvPT3_S3_
		.amdhsa_group_segment_fixed_size 0
		.amdhsa_private_segment_fixed_size 0
		.amdhsa_kernarg_size 16
		.amdhsa_user_sgpr_count 2
		.amdhsa_user_sgpr_dispatch_ptr 0
		.amdhsa_user_sgpr_queue_ptr 0
		.amdhsa_user_sgpr_kernarg_segment_ptr 1
		.amdhsa_user_sgpr_dispatch_id 0
		.amdhsa_user_sgpr_kernarg_preload_length 0
		.amdhsa_user_sgpr_kernarg_preload_offset 0
		.amdhsa_user_sgpr_private_segment_size 0
		.amdhsa_uses_dynamic_stack 0
		.amdhsa_enable_private_segment 0
		.amdhsa_system_sgpr_workgroup_id_x 1
		.amdhsa_system_sgpr_workgroup_id_y 0
		.amdhsa_system_sgpr_workgroup_id_z 0
		.amdhsa_system_sgpr_workgroup_info 0
		.amdhsa_system_vgpr_workitem_id 0
		.amdhsa_next_free_vgpr 18
		.amdhsa_next_free_sgpr 8
		.amdhsa_accum_offset 20
		.amdhsa_reserve_vcc 0
		.amdhsa_float_round_mode_32 0
		.amdhsa_float_round_mode_16_64 0
		.amdhsa_float_denorm_mode_32 3
		.amdhsa_float_denorm_mode_16_64 3
		.amdhsa_dx10_clamp 1
		.amdhsa_ieee_mode 1
		.amdhsa_fp16_overflow 0
		.amdhsa_tg_split 0
		.amdhsa_exception_fp_ieee_invalid_op 0
		.amdhsa_exception_fp_denorm_src 0
		.amdhsa_exception_fp_ieee_div_zero 0
		.amdhsa_exception_fp_ieee_overflow 0
		.amdhsa_exception_fp_ieee_underflow 0
		.amdhsa_exception_fp_ieee_inexact 0
		.amdhsa_exception_int_div_zero 0
	.end_amdhsa_kernel
	.section	.text._Z16warp_load_kernelILj256ELj8ELj32ELN6hipcub17WarpLoadAlgorithmE2EiEvPT3_S3_,"axG",@progbits,_Z16warp_load_kernelILj256ELj8ELj32ELN6hipcub17WarpLoadAlgorithmE2EiEvPT3_S3_,comdat
.Lfunc_end6:
	.size	_Z16warp_load_kernelILj256ELj8ELj32ELN6hipcub17WarpLoadAlgorithmE2EiEvPT3_S3_, .Lfunc_end6-_Z16warp_load_kernelILj256ELj8ELj32ELN6hipcub17WarpLoadAlgorithmE2EiEvPT3_S3_
                                        ; -- End function
	.section	.AMDGPU.csdata,"",@progbits
; Kernel info:
; codeLenInByte = 268
; NumSgprs: 14
; NumVgprs: 18
; NumAgprs: 0
; TotalNumVgprs: 18
; ScratchSize: 0
; MemoryBound: 0
; FloatMode: 240
; IeeeMode: 1
; LDSByteSize: 0 bytes/workgroup (compile time only)
; SGPRBlocks: 1
; VGPRBlocks: 2
; NumSGPRsForWavesPerEU: 14
; NumVGPRsForWavesPerEU: 18
; AccumOffset: 20
; Occupancy: 8
; WaveLimiterHint : 1
; COMPUTE_PGM_RSRC2:SCRATCH_EN: 0
; COMPUTE_PGM_RSRC2:USER_SGPR: 2
; COMPUTE_PGM_RSRC2:TRAP_HANDLER: 0
; COMPUTE_PGM_RSRC2:TGID_X_EN: 1
; COMPUTE_PGM_RSRC2:TGID_Y_EN: 0
; COMPUTE_PGM_RSRC2:TGID_Z_EN: 0
; COMPUTE_PGM_RSRC2:TIDIG_COMP_CNT: 0
; COMPUTE_PGM_RSRC3_GFX90A:ACCUM_OFFSET: 4
; COMPUTE_PGM_RSRC3_GFX90A:TG_SPLIT: 0
	.section	.text._Z16warp_load_kernelILj256ELj8ELj32ELN6hipcub17WarpLoadAlgorithmE3EiEvPT3_S3_,"axG",@progbits,_Z16warp_load_kernelILj256ELj8ELj32ELN6hipcub17WarpLoadAlgorithmE3EiEvPT3_S3_,comdat
	.protected	_Z16warp_load_kernelILj256ELj8ELj32ELN6hipcub17WarpLoadAlgorithmE3EiEvPT3_S3_ ; -- Begin function _Z16warp_load_kernelILj256ELj8ELj32ELN6hipcub17WarpLoadAlgorithmE3EiEvPT3_S3_
	.globl	_Z16warp_load_kernelILj256ELj8ELj32ELN6hipcub17WarpLoadAlgorithmE3EiEvPT3_S3_
	.p2align	8
	.type	_Z16warp_load_kernelILj256ELj8ELj32ELN6hipcub17WarpLoadAlgorithmE3EiEvPT3_S3_,@function
_Z16warp_load_kernelILj256ELj8ELj32ELN6hipcub17WarpLoadAlgorithmE3EiEvPT3_S3_: ; @_Z16warp_load_kernelILj256ELj8ELj32ELN6hipcub17WarpLoadAlgorithmE3EiEvPT3_S3_
; %bb.0:
	s_load_dwordx4 s[4:7], s[0:1], 0x0
	v_mbcnt_lo_u32_b32 v1, -1, 0
	v_lshrrev_b32_e32 v6, 5, v0
	v_mbcnt_hi_u32_b32 v1, -1, v1
	s_lshl_b32 s0, s2, 11
	s_waitcnt lgkmcnt(0)
	v_mov_b32_e32 v2, s4
	v_mov_b32_e32 v3, s5
	v_and_b32_e32 v8, 31, v1
	v_lshl_or_b32 v4, v6, 8, s0
	v_mov_b32_e32 v5, 0
	v_lshl_add_u64 v[2:3], v[4:5], 2, v[2:3]
	v_lshlrev_b32_e32 v4, 2, v8
	v_lshl_add_u64 v[2:3], v[2:3], 0, v[4:5]
	global_load_dword v14, v[2:3], off
	global_load_dword v15, v[2:3], off offset:128
	global_load_dword v16, v[2:3], off offset:256
	;; [unrolled: 1-line block ×7, first 2 shown]
	v_lshl_or_b32 v2, v6, 10, v4
	v_or_b32_e32 v4, s0, v0
	v_mov_b32_e32 v1, v5
	v_mad_u32_u24 v22, v8, 28, v2
	v_or_b32_e32 v0, 0x400, v4
	v_lshl_add_u64 v[12:13], v[0:1], 2, s[6:7]
	v_mov_b32_e32 v7, v5
	v_lshl_add_u64 v[10:11], v[4:5], 2, s[6:7]
	v_or_b32_e32 v6, 0x500, v4
	v_or_b32_e32 v8, 0x600, v4
	;; [unrolled: 1-line block ×3, first 2 shown]
	v_mov_b32_e32 v9, v5
	v_lshl_add_u64 v[8:9], v[8:9], 2, s[6:7]
	s_waitcnt vmcnt(6)
	ds_write2_b32 v2, v14, v15 offset1:32
	s_waitcnt vmcnt(4)
	ds_write2_b32 v2, v16, v17 offset0:64 offset1:96
	s_waitcnt vmcnt(2)
	ds_write2_b32 v2, v18, v19 offset0:128 offset1:160
	;; [unrolled: 2-line block ×3, first 2 shown]
	; wave barrier
	ds_read_b128 v[0:3], v22
	v_lshl_add_u64 v[14:15], v[6:7], 2, s[6:7]
	v_lshl_add_u64 v[16:17], v[4:5], 2, s[6:7]
	ds_read_b128 v[4:7], v22 offset:16
	s_waitcnt lgkmcnt(1)
	global_store_dword v[10:11], v0, off
	global_store_dword v[10:11], v1, off offset:1024
	global_store_dword v[10:11], v2, off offset:2048
	;; [unrolled: 1-line block ×3, first 2 shown]
	s_waitcnt lgkmcnt(0)
	global_store_dword v[12:13], v4, off
	global_store_dword v[14:15], v5, off
	;; [unrolled: 1-line block ×4, first 2 shown]
	s_endpgm
	.section	.rodata,"a",@progbits
	.p2align	6, 0x0
	.amdhsa_kernel _Z16warp_load_kernelILj256ELj8ELj32ELN6hipcub17WarpLoadAlgorithmE3EiEvPT3_S3_
		.amdhsa_group_segment_fixed_size 8192
		.amdhsa_private_segment_fixed_size 0
		.amdhsa_kernarg_size 16
		.amdhsa_user_sgpr_count 2
		.amdhsa_user_sgpr_dispatch_ptr 0
		.amdhsa_user_sgpr_queue_ptr 0
		.amdhsa_user_sgpr_kernarg_segment_ptr 1
		.amdhsa_user_sgpr_dispatch_id 0
		.amdhsa_user_sgpr_kernarg_preload_length 0
		.amdhsa_user_sgpr_kernarg_preload_offset 0
		.amdhsa_user_sgpr_private_segment_size 0
		.amdhsa_uses_dynamic_stack 0
		.amdhsa_enable_private_segment 0
		.amdhsa_system_sgpr_workgroup_id_x 1
		.amdhsa_system_sgpr_workgroup_id_y 0
		.amdhsa_system_sgpr_workgroup_id_z 0
		.amdhsa_system_sgpr_workgroup_info 0
		.amdhsa_system_vgpr_workitem_id 0
		.amdhsa_next_free_vgpr 23
		.amdhsa_next_free_sgpr 8
		.amdhsa_accum_offset 24
		.amdhsa_reserve_vcc 0
		.amdhsa_float_round_mode_32 0
		.amdhsa_float_round_mode_16_64 0
		.amdhsa_float_denorm_mode_32 3
		.amdhsa_float_denorm_mode_16_64 3
		.amdhsa_dx10_clamp 1
		.amdhsa_ieee_mode 1
		.amdhsa_fp16_overflow 0
		.amdhsa_tg_split 0
		.amdhsa_exception_fp_ieee_invalid_op 0
		.amdhsa_exception_fp_denorm_src 0
		.amdhsa_exception_fp_ieee_div_zero 0
		.amdhsa_exception_fp_ieee_overflow 0
		.amdhsa_exception_fp_ieee_underflow 0
		.amdhsa_exception_fp_ieee_inexact 0
		.amdhsa_exception_int_div_zero 0
	.end_amdhsa_kernel
	.section	.text._Z16warp_load_kernelILj256ELj8ELj32ELN6hipcub17WarpLoadAlgorithmE3EiEvPT3_S3_,"axG",@progbits,_Z16warp_load_kernelILj256ELj8ELj32ELN6hipcub17WarpLoadAlgorithmE3EiEvPT3_S3_,comdat
.Lfunc_end7:
	.size	_Z16warp_load_kernelILj256ELj8ELj32ELN6hipcub17WarpLoadAlgorithmE3EiEvPT3_S3_, .Lfunc_end7-_Z16warp_load_kernelILj256ELj8ELj32ELN6hipcub17WarpLoadAlgorithmE3EiEvPT3_S3_
                                        ; -- End function
	.section	.AMDGPU.csdata,"",@progbits
; Kernel info:
; codeLenInByte = 388
; NumSgprs: 14
; NumVgprs: 23
; NumAgprs: 0
; TotalNumVgprs: 23
; ScratchSize: 0
; MemoryBound: 0
; FloatMode: 240
; IeeeMode: 1
; LDSByteSize: 8192 bytes/workgroup (compile time only)
; SGPRBlocks: 1
; VGPRBlocks: 2
; NumSGPRsForWavesPerEU: 14
; NumVGPRsForWavesPerEU: 23
; AccumOffset: 24
; Occupancy: 8
; WaveLimiterHint : 1
; COMPUTE_PGM_RSRC2:SCRATCH_EN: 0
; COMPUTE_PGM_RSRC2:USER_SGPR: 2
; COMPUTE_PGM_RSRC2:TRAP_HANDLER: 0
; COMPUTE_PGM_RSRC2:TGID_X_EN: 1
; COMPUTE_PGM_RSRC2:TGID_Y_EN: 0
; COMPUTE_PGM_RSRC2:TGID_Z_EN: 0
; COMPUTE_PGM_RSRC2:TIDIG_COMP_CNT: 0
; COMPUTE_PGM_RSRC3_GFX90A:ACCUM_OFFSET: 5
; COMPUTE_PGM_RSRC3_GFX90A:TG_SPLIT: 0
	.section	.text._Z16warp_load_kernelILj256ELj16ELj32ELN6hipcub17WarpLoadAlgorithmE0EiEvPT3_S3_,"axG",@progbits,_Z16warp_load_kernelILj256ELj16ELj32ELN6hipcub17WarpLoadAlgorithmE0EiEvPT3_S3_,comdat
	.protected	_Z16warp_load_kernelILj256ELj16ELj32ELN6hipcub17WarpLoadAlgorithmE0EiEvPT3_S3_ ; -- Begin function _Z16warp_load_kernelILj256ELj16ELj32ELN6hipcub17WarpLoadAlgorithmE0EiEvPT3_S3_
	.globl	_Z16warp_load_kernelILj256ELj16ELj32ELN6hipcub17WarpLoadAlgorithmE0EiEvPT3_S3_
	.p2align	8
	.type	_Z16warp_load_kernelILj256ELj16ELj32ELN6hipcub17WarpLoadAlgorithmE0EiEvPT3_S3_,@function
_Z16warp_load_kernelILj256ELj16ELj32ELN6hipcub17WarpLoadAlgorithmE0EiEvPT3_S3_: ; @_Z16warp_load_kernelILj256ELj16ELj32ELN6hipcub17WarpLoadAlgorithmE0EiEvPT3_S3_
; %bb.0:
	s_load_dwordx4 s[4:7], s[0:1], 0x0
	v_mbcnt_lo_u32_b32 v1, -1, 0
	v_lshlrev_b32_e32 v4, 4, v0
	v_mbcnt_hi_u32_b32 v1, -1, v1
	s_lshl_b32 s0, s2, 12
	v_and_b32_e32 v4, 0xe00, v4
	s_waitcnt lgkmcnt(0)
	v_mov_b32_e32 v2, s4
	v_mov_b32_e32 v3, s5
	v_or_b32_e32 v18, s0, v4
	v_mov_b32_e32 v19, 0
	v_lshlrev_b32_e32 v1, 6, v1
	v_lshl_add_u64 v[2:3], v[18:19], 2, v[2:3]
	v_and_b32_e32 v18, 0x7c0, v1
	v_lshl_add_u64 v[20:21], v[2:3], 0, v[18:19]
	global_load_dwordx4 v[2:5], v[20:21], off
	global_load_dwordx4 v[6:9], v[20:21], off offset:16
	global_load_dwordx4 v[10:13], v[20:21], off offset:32
	;; [unrolled: 1-line block ×3, first 2 shown]
	v_or_b32_e32 v18, s0, v0
	v_mov_b32_e32 v1, v19
	v_mov_b32_e32 v21, v19
	;; [unrolled: 1-line block ×11, first 2 shown]
	v_lshl_add_u64 v[40:41], v[18:19], 2, s[6:7]
	v_or_b32_e32 v0, 0x400, v18
	v_or_b32_e32 v20, 0x500, v18
	;; [unrolled: 1-line block ×12, first 2 shown]
	v_lshl_add_u64 v[0:1], v[0:1], 2, s[6:7]
	v_lshl_add_u64 v[20:21], v[20:21], 2, s[6:7]
	;; [unrolled: 1-line block ×12, first 2 shown]
	s_waitcnt vmcnt(3)
	global_store_dword v[40:41], v2, off
	global_store_dword v[40:41], v3, off offset:1024
	global_store_dword v[40:41], v4, off offset:2048
	;; [unrolled: 1-line block ×3, first 2 shown]
	s_waitcnt vmcnt(6)
	global_store_dword v[0:1], v6, off
	global_store_dword v[20:21], v7, off
	global_store_dword v[22:23], v8, off
	global_store_dword v[24:25], v9, off
	s_waitcnt vmcnt(9)
	global_store_dword v[26:27], v10, off
	global_store_dword v[28:29], v11, off
	global_store_dword v[30:31], v12, off
	global_store_dword v[32:33], v13, off
	;; [unrolled: 5-line block ×3, first 2 shown]
	s_endpgm
	.section	.rodata,"a",@progbits
	.p2align	6, 0x0
	.amdhsa_kernel _Z16warp_load_kernelILj256ELj16ELj32ELN6hipcub17WarpLoadAlgorithmE0EiEvPT3_S3_
		.amdhsa_group_segment_fixed_size 0
		.amdhsa_private_segment_fixed_size 0
		.amdhsa_kernarg_size 16
		.amdhsa_user_sgpr_count 2
		.amdhsa_user_sgpr_dispatch_ptr 0
		.amdhsa_user_sgpr_queue_ptr 0
		.amdhsa_user_sgpr_kernarg_segment_ptr 1
		.amdhsa_user_sgpr_dispatch_id 0
		.amdhsa_user_sgpr_kernarg_preload_length 0
		.amdhsa_user_sgpr_kernarg_preload_offset 0
		.amdhsa_user_sgpr_private_segment_size 0
		.amdhsa_uses_dynamic_stack 0
		.amdhsa_enable_private_segment 0
		.amdhsa_system_sgpr_workgroup_id_x 1
		.amdhsa_system_sgpr_workgroup_id_y 0
		.amdhsa_system_sgpr_workgroup_id_z 0
		.amdhsa_system_sgpr_workgroup_info 0
		.amdhsa_system_vgpr_workitem_id 0
		.amdhsa_next_free_vgpr 42
		.amdhsa_next_free_sgpr 8
		.amdhsa_accum_offset 44
		.amdhsa_reserve_vcc 0
		.amdhsa_float_round_mode_32 0
		.amdhsa_float_round_mode_16_64 0
		.amdhsa_float_denorm_mode_32 3
		.amdhsa_float_denorm_mode_16_64 3
		.amdhsa_dx10_clamp 1
		.amdhsa_ieee_mode 1
		.amdhsa_fp16_overflow 0
		.amdhsa_tg_split 0
		.amdhsa_exception_fp_ieee_invalid_op 0
		.amdhsa_exception_fp_denorm_src 0
		.amdhsa_exception_fp_ieee_div_zero 0
		.amdhsa_exception_fp_ieee_overflow 0
		.amdhsa_exception_fp_ieee_underflow 0
		.amdhsa_exception_fp_ieee_inexact 0
		.amdhsa_exception_int_div_zero 0
	.end_amdhsa_kernel
	.section	.text._Z16warp_load_kernelILj256ELj16ELj32ELN6hipcub17WarpLoadAlgorithmE0EiEvPT3_S3_,"axG",@progbits,_Z16warp_load_kernelILj256ELj16ELj32ELN6hipcub17WarpLoadAlgorithmE0EiEvPT3_S3_,comdat
.Lfunc_end8:
	.size	_Z16warp_load_kernelILj256ELj16ELj32ELN6hipcub17WarpLoadAlgorithmE0EiEvPT3_S3_, .Lfunc_end8-_Z16warp_load_kernelILj256ELj16ELj32ELN6hipcub17WarpLoadAlgorithmE0EiEvPT3_S3_
                                        ; -- End function
	.section	.AMDGPU.csdata,"",@progbits
; Kernel info:
; codeLenInByte = 516
; NumSgprs: 14
; NumVgprs: 42
; NumAgprs: 0
; TotalNumVgprs: 42
; ScratchSize: 0
; MemoryBound: 0
; FloatMode: 240
; IeeeMode: 1
; LDSByteSize: 0 bytes/workgroup (compile time only)
; SGPRBlocks: 1
; VGPRBlocks: 5
; NumSGPRsForWavesPerEU: 14
; NumVGPRsForWavesPerEU: 42
; AccumOffset: 44
; Occupancy: 8
; WaveLimiterHint : 1
; COMPUTE_PGM_RSRC2:SCRATCH_EN: 0
; COMPUTE_PGM_RSRC2:USER_SGPR: 2
; COMPUTE_PGM_RSRC2:TRAP_HANDLER: 0
; COMPUTE_PGM_RSRC2:TGID_X_EN: 1
; COMPUTE_PGM_RSRC2:TGID_Y_EN: 0
; COMPUTE_PGM_RSRC2:TGID_Z_EN: 0
; COMPUTE_PGM_RSRC2:TIDIG_COMP_CNT: 0
; COMPUTE_PGM_RSRC3_GFX90A:ACCUM_OFFSET: 10
; COMPUTE_PGM_RSRC3_GFX90A:TG_SPLIT: 0
	.section	.text._Z16warp_load_kernelILj256ELj16ELj32ELN6hipcub17WarpLoadAlgorithmE1EiEvPT3_S3_,"axG",@progbits,_Z16warp_load_kernelILj256ELj16ELj32ELN6hipcub17WarpLoadAlgorithmE1EiEvPT3_S3_,comdat
	.protected	_Z16warp_load_kernelILj256ELj16ELj32ELN6hipcub17WarpLoadAlgorithmE1EiEvPT3_S3_ ; -- Begin function _Z16warp_load_kernelILj256ELj16ELj32ELN6hipcub17WarpLoadAlgorithmE1EiEvPT3_S3_
	.globl	_Z16warp_load_kernelILj256ELj16ELj32ELN6hipcub17WarpLoadAlgorithmE1EiEvPT3_S3_
	.p2align	8
	.type	_Z16warp_load_kernelILj256ELj16ELj32ELN6hipcub17WarpLoadAlgorithmE1EiEvPT3_S3_,@function
_Z16warp_load_kernelILj256ELj16ELj32ELN6hipcub17WarpLoadAlgorithmE1EiEvPT3_S3_: ; @_Z16warp_load_kernelILj256ELj16ELj32ELN6hipcub17WarpLoadAlgorithmE1EiEvPT3_S3_
; %bb.0:
	s_load_dwordx4 s[4:7], s[0:1], 0x0
	v_mbcnt_lo_u32_b32 v1, -1, 0
	v_lshlrev_b32_e32 v4, 4, v0
	v_mbcnt_hi_u32_b32 v1, -1, v1
	s_lshl_b32 s0, s2, 12
	v_and_b32_e32 v4, 0xe00, v4
	s_waitcnt lgkmcnt(0)
	v_mov_b32_e32 v2, s4
	v_mov_b32_e32 v3, s5
	v_and_b32_e32 v1, 31, v1
	v_or_b32_e32 v4, s0, v4
	v_mov_b32_e32 v5, 0
	v_lshl_add_u64 v[2:3], v[4:5], 2, v[2:3]
	v_lshlrev_b32_e32 v4, 2, v1
	v_lshl_add_u64 v[2:3], v[2:3], 0, v[4:5]
	global_load_dword v26, v[2:3], off
	global_load_dword v27, v[2:3], off offset:128
	global_load_dword v28, v[2:3], off offset:256
	;; [unrolled: 1-line block ×15, first 2 shown]
	v_or_b32_e32 v4, s0, v0
	v_mov_b32_e32 v1, v5
	v_mov_b32_e32 v3, v5
	v_mov_b32_e32 v7, v5
	v_mov_b32_e32 v9, v5
	v_mov_b32_e32 v11, v5
	v_mov_b32_e32 v13, v5
	v_mov_b32_e32 v15, v5
	v_mov_b32_e32 v17, v5
	v_mov_b32_e32 v19, v5
	v_mov_b32_e32 v21, v5
	v_mov_b32_e32 v23, v5
	v_lshl_add_u64 v[24:25], v[4:5], 2, s[6:7]
	v_or_b32_e32 v0, 0x400, v4
	v_or_b32_e32 v2, 0x500, v4
	;; [unrolled: 1-line block ×12, first 2 shown]
	v_lshl_add_u64 v[0:1], v[0:1], 2, s[6:7]
	v_lshl_add_u64 v[2:3], v[2:3], 2, s[6:7]
	;; [unrolled: 1-line block ×12, first 2 shown]
	s_waitcnt vmcnt(15)
	global_store_dword v[24:25], v26, off
	s_waitcnt vmcnt(15)
	global_store_dword v[24:25], v27, off offset:1024
	s_waitcnt vmcnt(15)
	global_store_dword v[24:25], v28, off offset:2048
	;; [unrolled: 2-line block ×3, first 2 shown]
	s_waitcnt vmcnt(15)
	global_store_dword v[0:1], v30, off
	s_waitcnt vmcnt(15)
	global_store_dword v[2:3], v31, off
	;; [unrolled: 2-line block ×12, first 2 shown]
	s_endpgm
	.section	.rodata,"a",@progbits
	.p2align	6, 0x0
	.amdhsa_kernel _Z16warp_load_kernelILj256ELj16ELj32ELN6hipcub17WarpLoadAlgorithmE1EiEvPT3_S3_
		.amdhsa_group_segment_fixed_size 0
		.amdhsa_private_segment_fixed_size 0
		.amdhsa_kernarg_size 16
		.amdhsa_user_sgpr_count 2
		.amdhsa_user_sgpr_dispatch_ptr 0
		.amdhsa_user_sgpr_queue_ptr 0
		.amdhsa_user_sgpr_kernarg_segment_ptr 1
		.amdhsa_user_sgpr_dispatch_id 0
		.amdhsa_user_sgpr_kernarg_preload_length 0
		.amdhsa_user_sgpr_kernarg_preload_offset 0
		.amdhsa_user_sgpr_private_segment_size 0
		.amdhsa_uses_dynamic_stack 0
		.amdhsa_enable_private_segment 0
		.amdhsa_system_sgpr_workgroup_id_x 1
		.amdhsa_system_sgpr_workgroup_id_y 0
		.amdhsa_system_sgpr_workgroup_id_z 0
		.amdhsa_system_sgpr_workgroup_info 0
		.amdhsa_system_vgpr_workitem_id 0
		.amdhsa_next_free_vgpr 42
		.amdhsa_next_free_sgpr 8
		.amdhsa_accum_offset 44
		.amdhsa_reserve_vcc 0
		.amdhsa_float_round_mode_32 0
		.amdhsa_float_round_mode_16_64 0
		.amdhsa_float_denorm_mode_32 3
		.amdhsa_float_denorm_mode_16_64 3
		.amdhsa_dx10_clamp 1
		.amdhsa_ieee_mode 1
		.amdhsa_fp16_overflow 0
		.amdhsa_tg_split 0
		.amdhsa_exception_fp_ieee_invalid_op 0
		.amdhsa_exception_fp_denorm_src 0
		.amdhsa_exception_fp_ieee_div_zero 0
		.amdhsa_exception_fp_ieee_overflow 0
		.amdhsa_exception_fp_ieee_underflow 0
		.amdhsa_exception_fp_ieee_inexact 0
		.amdhsa_exception_int_div_zero 0
	.end_amdhsa_kernel
	.section	.text._Z16warp_load_kernelILj256ELj16ELj32ELN6hipcub17WarpLoadAlgorithmE1EiEvPT3_S3_,"axG",@progbits,_Z16warp_load_kernelILj256ELj16ELj32ELN6hipcub17WarpLoadAlgorithmE1EiEvPT3_S3_,comdat
.Lfunc_end9:
	.size	_Z16warp_load_kernelILj256ELj16ELj32ELN6hipcub17WarpLoadAlgorithmE1EiEvPT3_S3_, .Lfunc_end9-_Z16warp_load_kernelILj256ELj16ELj32ELN6hipcub17WarpLoadAlgorithmE1EiEvPT3_S3_
                                        ; -- End function
	.section	.AMDGPU.csdata,"",@progbits
; Kernel info:
; codeLenInByte = 656
; NumSgprs: 14
; NumVgprs: 42
; NumAgprs: 0
; TotalNumVgprs: 42
; ScratchSize: 0
; MemoryBound: 0
; FloatMode: 240
; IeeeMode: 1
; LDSByteSize: 0 bytes/workgroup (compile time only)
; SGPRBlocks: 1
; VGPRBlocks: 5
; NumSGPRsForWavesPerEU: 14
; NumVGPRsForWavesPerEU: 42
; AccumOffset: 44
; Occupancy: 8
; WaveLimiterHint : 1
; COMPUTE_PGM_RSRC2:SCRATCH_EN: 0
; COMPUTE_PGM_RSRC2:USER_SGPR: 2
; COMPUTE_PGM_RSRC2:TRAP_HANDLER: 0
; COMPUTE_PGM_RSRC2:TGID_X_EN: 1
; COMPUTE_PGM_RSRC2:TGID_Y_EN: 0
; COMPUTE_PGM_RSRC2:TGID_Z_EN: 0
; COMPUTE_PGM_RSRC2:TIDIG_COMP_CNT: 0
; COMPUTE_PGM_RSRC3_GFX90A:ACCUM_OFFSET: 10
; COMPUTE_PGM_RSRC3_GFX90A:TG_SPLIT: 0
	.section	.text._Z16warp_load_kernelILj256ELj16ELj32ELN6hipcub17WarpLoadAlgorithmE2EiEvPT3_S3_,"axG",@progbits,_Z16warp_load_kernelILj256ELj16ELj32ELN6hipcub17WarpLoadAlgorithmE2EiEvPT3_S3_,comdat
	.protected	_Z16warp_load_kernelILj256ELj16ELj32ELN6hipcub17WarpLoadAlgorithmE2EiEvPT3_S3_ ; -- Begin function _Z16warp_load_kernelILj256ELj16ELj32ELN6hipcub17WarpLoadAlgorithmE2EiEvPT3_S3_
	.globl	_Z16warp_load_kernelILj256ELj16ELj32ELN6hipcub17WarpLoadAlgorithmE2EiEvPT3_S3_
	.p2align	8
	.type	_Z16warp_load_kernelILj256ELj16ELj32ELN6hipcub17WarpLoadAlgorithmE2EiEvPT3_S3_,@function
_Z16warp_load_kernelILj256ELj16ELj32ELN6hipcub17WarpLoadAlgorithmE2EiEvPT3_S3_: ; @_Z16warp_load_kernelILj256ELj16ELj32ELN6hipcub17WarpLoadAlgorithmE2EiEvPT3_S3_
; %bb.0:
	s_load_dwordx4 s[4:7], s[0:1], 0x0
	v_mbcnt_lo_u32_b32 v1, -1, 0
	v_lshlrev_b32_e32 v4, 4, v0
	v_mbcnt_hi_u32_b32 v1, -1, v1
	s_lshl_b32 s0, s2, 12
	v_and_b32_e32 v4, 0xe00, v4
	s_waitcnt lgkmcnt(0)
	v_mov_b32_e32 v2, s4
	v_mov_b32_e32 v3, s5
	v_or_b32_e32 v18, s0, v4
	v_mov_b32_e32 v19, 0
	v_lshlrev_b32_e32 v1, 6, v1
	v_lshl_add_u64 v[2:3], v[18:19], 2, v[2:3]
	v_and_b32_e32 v18, 0x7c0, v1
	v_lshl_add_u64 v[20:21], v[2:3], 0, v[18:19]
	global_load_dwordx4 v[2:5], v[20:21], off
	global_load_dwordx4 v[6:9], v[20:21], off offset:16
	global_load_dwordx4 v[10:13], v[20:21], off offset:32
	;; [unrolled: 1-line block ×3, first 2 shown]
	v_or_b32_e32 v18, s0, v0
	v_mov_b32_e32 v1, v19
	v_mov_b32_e32 v21, v19
	;; [unrolled: 1-line block ×11, first 2 shown]
	v_lshl_add_u64 v[40:41], v[18:19], 2, s[6:7]
	v_or_b32_e32 v0, 0x400, v18
	v_or_b32_e32 v20, 0x500, v18
	;; [unrolled: 1-line block ×12, first 2 shown]
	v_lshl_add_u64 v[0:1], v[0:1], 2, s[6:7]
	v_lshl_add_u64 v[20:21], v[20:21], 2, s[6:7]
	;; [unrolled: 1-line block ×12, first 2 shown]
	s_waitcnt vmcnt(3)
	global_store_dword v[40:41], v2, off
	global_store_dword v[40:41], v3, off offset:1024
	global_store_dword v[40:41], v4, off offset:2048
	;; [unrolled: 1-line block ×3, first 2 shown]
	s_waitcnt vmcnt(6)
	global_store_dword v[0:1], v6, off
	global_store_dword v[20:21], v7, off
	global_store_dword v[22:23], v8, off
	global_store_dword v[24:25], v9, off
	s_waitcnt vmcnt(9)
	global_store_dword v[26:27], v10, off
	global_store_dword v[28:29], v11, off
	global_store_dword v[30:31], v12, off
	global_store_dword v[32:33], v13, off
	;; [unrolled: 5-line block ×3, first 2 shown]
	s_endpgm
	.section	.rodata,"a",@progbits
	.p2align	6, 0x0
	.amdhsa_kernel _Z16warp_load_kernelILj256ELj16ELj32ELN6hipcub17WarpLoadAlgorithmE2EiEvPT3_S3_
		.amdhsa_group_segment_fixed_size 0
		.amdhsa_private_segment_fixed_size 0
		.amdhsa_kernarg_size 16
		.amdhsa_user_sgpr_count 2
		.amdhsa_user_sgpr_dispatch_ptr 0
		.amdhsa_user_sgpr_queue_ptr 0
		.amdhsa_user_sgpr_kernarg_segment_ptr 1
		.amdhsa_user_sgpr_dispatch_id 0
		.amdhsa_user_sgpr_kernarg_preload_length 0
		.amdhsa_user_sgpr_kernarg_preload_offset 0
		.amdhsa_user_sgpr_private_segment_size 0
		.amdhsa_uses_dynamic_stack 0
		.amdhsa_enable_private_segment 0
		.amdhsa_system_sgpr_workgroup_id_x 1
		.amdhsa_system_sgpr_workgroup_id_y 0
		.amdhsa_system_sgpr_workgroup_id_z 0
		.amdhsa_system_sgpr_workgroup_info 0
		.amdhsa_system_vgpr_workitem_id 0
		.amdhsa_next_free_vgpr 42
		.amdhsa_next_free_sgpr 8
		.amdhsa_accum_offset 44
		.amdhsa_reserve_vcc 0
		.amdhsa_float_round_mode_32 0
		.amdhsa_float_round_mode_16_64 0
		.amdhsa_float_denorm_mode_32 3
		.amdhsa_float_denorm_mode_16_64 3
		.amdhsa_dx10_clamp 1
		.amdhsa_ieee_mode 1
		.amdhsa_fp16_overflow 0
		.amdhsa_tg_split 0
		.amdhsa_exception_fp_ieee_invalid_op 0
		.amdhsa_exception_fp_denorm_src 0
		.amdhsa_exception_fp_ieee_div_zero 0
		.amdhsa_exception_fp_ieee_overflow 0
		.amdhsa_exception_fp_ieee_underflow 0
		.amdhsa_exception_fp_ieee_inexact 0
		.amdhsa_exception_int_div_zero 0
	.end_amdhsa_kernel
	.section	.text._Z16warp_load_kernelILj256ELj16ELj32ELN6hipcub17WarpLoadAlgorithmE2EiEvPT3_S3_,"axG",@progbits,_Z16warp_load_kernelILj256ELj16ELj32ELN6hipcub17WarpLoadAlgorithmE2EiEvPT3_S3_,comdat
.Lfunc_end10:
	.size	_Z16warp_load_kernelILj256ELj16ELj32ELN6hipcub17WarpLoadAlgorithmE2EiEvPT3_S3_, .Lfunc_end10-_Z16warp_load_kernelILj256ELj16ELj32ELN6hipcub17WarpLoadAlgorithmE2EiEvPT3_S3_
                                        ; -- End function
	.section	.AMDGPU.csdata,"",@progbits
; Kernel info:
; codeLenInByte = 516
; NumSgprs: 14
; NumVgprs: 42
; NumAgprs: 0
; TotalNumVgprs: 42
; ScratchSize: 0
; MemoryBound: 0
; FloatMode: 240
; IeeeMode: 1
; LDSByteSize: 0 bytes/workgroup (compile time only)
; SGPRBlocks: 1
; VGPRBlocks: 5
; NumSGPRsForWavesPerEU: 14
; NumVGPRsForWavesPerEU: 42
; AccumOffset: 44
; Occupancy: 8
; WaveLimiterHint : 1
; COMPUTE_PGM_RSRC2:SCRATCH_EN: 0
; COMPUTE_PGM_RSRC2:USER_SGPR: 2
; COMPUTE_PGM_RSRC2:TRAP_HANDLER: 0
; COMPUTE_PGM_RSRC2:TGID_X_EN: 1
; COMPUTE_PGM_RSRC2:TGID_Y_EN: 0
; COMPUTE_PGM_RSRC2:TGID_Z_EN: 0
; COMPUTE_PGM_RSRC2:TIDIG_COMP_CNT: 0
; COMPUTE_PGM_RSRC3_GFX90A:ACCUM_OFFSET: 10
; COMPUTE_PGM_RSRC3_GFX90A:TG_SPLIT: 0
	.section	.text._Z16warp_load_kernelILj256ELj16ELj32ELN6hipcub17WarpLoadAlgorithmE3EiEvPT3_S3_,"axG",@progbits,_Z16warp_load_kernelILj256ELj16ELj32ELN6hipcub17WarpLoadAlgorithmE3EiEvPT3_S3_,comdat
	.protected	_Z16warp_load_kernelILj256ELj16ELj32ELN6hipcub17WarpLoadAlgorithmE3EiEvPT3_S3_ ; -- Begin function _Z16warp_load_kernelILj256ELj16ELj32ELN6hipcub17WarpLoadAlgorithmE3EiEvPT3_S3_
	.globl	_Z16warp_load_kernelILj256ELj16ELj32ELN6hipcub17WarpLoadAlgorithmE3EiEvPT3_S3_
	.p2align	8
	.type	_Z16warp_load_kernelILj256ELj16ELj32ELN6hipcub17WarpLoadAlgorithmE3EiEvPT3_S3_,@function
_Z16warp_load_kernelILj256ELj16ELj32ELN6hipcub17WarpLoadAlgorithmE3EiEvPT3_S3_: ; @_Z16warp_load_kernelILj256ELj16ELj32ELN6hipcub17WarpLoadAlgorithmE3EiEvPT3_S3_
; %bb.0:
	s_load_dwordx4 s[4:7], s[0:1], 0x0
	v_mbcnt_lo_u32_b32 v1, -1, 0
	v_lshrrev_b32_e32 v4, 5, v0
	v_mbcnt_hi_u32_b32 v1, -1, v1
	s_lshl_b32 s0, s2, 12
	s_waitcnt lgkmcnt(0)
	v_mov_b32_e32 v2, s4
	v_mov_b32_e32 v3, s5
	v_and_b32_e32 v6, 31, v1
	v_lshl_or_b32 v16, v4, 9, s0
	v_mov_b32_e32 v17, 0
	v_lshl_add_u64 v[2:3], v[16:17], 2, v[2:3]
	v_lshlrev_b32_e32 v16, 2, v6
	v_lshl_add_u64 v[2:3], v[2:3], 0, v[16:17]
	global_load_dword v40, v[2:3], off
	global_load_dword v41, v[2:3], off offset:128
	global_load_dword v42, v[2:3], off offset:256
	;; [unrolled: 1-line block ×15, first 2 shown]
	v_lshl_or_b32 v56, v4, 11, v16
	v_or_b32_e32 v16, s0, v0
	v_mov_b32_e32 v1, v17
	v_mov_b32_e32 v3, v17
	;; [unrolled: 1-line block ×8, first 2 shown]
	v_mad_u32_u24 v58, v6, 60, v56
	v_or_b32_e32 v0, 0x400, v16
	v_or_b32_e32 v2, 0x500, v16
	;; [unrolled: 1-line block ×8, first 2 shown]
	v_add_u32_e32 v57, 0x400, v56
	v_lshl_add_u64 v[24:25], v[0:1], 2, s[6:7]
	v_lshl_add_u64 v[26:27], v[2:3], 2, s[6:7]
	;; [unrolled: 1-line block ×8, first 2 shown]
	v_mov_b32_e32 v19, v17
	v_mov_b32_e32 v21, v17
	v_lshl_add_u64 v[22:23], v[16:17], 2, s[6:7]
	v_or_b32_e32 v18, 0xc00, v16
	v_or_b32_e32 v20, 0xd00, v16
	v_lshl_add_u64 v[18:19], v[18:19], 2, s[6:7]
	v_lshl_add_u64 v[20:21], v[20:21], 2, s[6:7]
	s_waitcnt vmcnt(14)
	ds_write2_b32 v56, v40, v41 offset1:32
	s_waitcnt vmcnt(12)
	ds_write2_b32 v56, v42, v43 offset0:64 offset1:96
	s_waitcnt vmcnt(10)
	ds_write2_b32 v56, v44, v45 offset0:128 offset1:160
	;; [unrolled: 2-line block ×3, first 2 shown]
	s_waitcnt vmcnt(6)
	ds_write2_b32 v57, v48, v49 offset1:32
	s_waitcnt vmcnt(4)
	ds_write2_b32 v57, v50, v51 offset0:64 offset1:96
	s_waitcnt vmcnt(2)
	ds_write2_b32 v57, v52, v53 offset0:128 offset1:160
	;; [unrolled: 2-line block ×3, first 2 shown]
	; wave barrier
	ds_read_b128 v[0:3], v58
	ds_read_b128 v[4:7], v58 offset:16
	ds_read_b128 v[8:11], v58 offset:32
	;; [unrolled: 1-line block ×3, first 2 shown]
	s_waitcnt lgkmcnt(3)
	global_store_dword v[22:23], v0, off
	global_store_dword v[22:23], v1, off offset:1024
	global_store_dword v[22:23], v2, off offset:2048
	;; [unrolled: 1-line block ×3, first 2 shown]
	s_waitcnt lgkmcnt(2)
	global_store_dword v[24:25], v4, off
	global_store_dword v[26:27], v5, off
	;; [unrolled: 1-line block ×4, first 2 shown]
	s_waitcnt lgkmcnt(1)
	global_store_dword v[32:33], v8, off
	global_store_dword v[34:35], v9, off
	;; [unrolled: 1-line block ×4, first 2 shown]
	s_waitcnt lgkmcnt(0)
	global_store_dword v[18:19], v12, off
	global_store_dword v[20:21], v13, off
	v_or_b32_e32 v0, 0xe00, v16
	v_mov_b32_e32 v1, v17
	v_lshl_add_u64 v[0:1], v[0:1], 2, s[6:7]
	v_or_b32_e32 v16, 0xf00, v16
	global_store_dword v[0:1], v14, off
	v_lshl_add_u64 v[0:1], v[16:17], 2, s[6:7]
	global_store_dword v[0:1], v15, off
	s_endpgm
	.section	.rodata,"a",@progbits
	.p2align	6, 0x0
	.amdhsa_kernel _Z16warp_load_kernelILj256ELj16ELj32ELN6hipcub17WarpLoadAlgorithmE3EiEvPT3_S3_
		.amdhsa_group_segment_fixed_size 16384
		.amdhsa_private_segment_fixed_size 0
		.amdhsa_kernarg_size 16
		.amdhsa_user_sgpr_count 2
		.amdhsa_user_sgpr_dispatch_ptr 0
		.amdhsa_user_sgpr_queue_ptr 0
		.amdhsa_user_sgpr_kernarg_segment_ptr 1
		.amdhsa_user_sgpr_dispatch_id 0
		.amdhsa_user_sgpr_kernarg_preload_length 0
		.amdhsa_user_sgpr_kernarg_preload_offset 0
		.amdhsa_user_sgpr_private_segment_size 0
		.amdhsa_uses_dynamic_stack 0
		.amdhsa_enable_private_segment 0
		.amdhsa_system_sgpr_workgroup_id_x 1
		.amdhsa_system_sgpr_workgroup_id_y 0
		.amdhsa_system_sgpr_workgroup_id_z 0
		.amdhsa_system_sgpr_workgroup_info 0
		.amdhsa_system_vgpr_workitem_id 0
		.amdhsa_next_free_vgpr 59
		.amdhsa_next_free_sgpr 8
		.amdhsa_accum_offset 60
		.amdhsa_reserve_vcc 0
		.amdhsa_float_round_mode_32 0
		.amdhsa_float_round_mode_16_64 0
		.amdhsa_float_denorm_mode_32 3
		.amdhsa_float_denorm_mode_16_64 3
		.amdhsa_dx10_clamp 1
		.amdhsa_ieee_mode 1
		.amdhsa_fp16_overflow 0
		.amdhsa_tg_split 0
		.amdhsa_exception_fp_ieee_invalid_op 0
		.amdhsa_exception_fp_denorm_src 0
		.amdhsa_exception_fp_ieee_div_zero 0
		.amdhsa_exception_fp_ieee_overflow 0
		.amdhsa_exception_fp_ieee_underflow 0
		.amdhsa_exception_fp_ieee_inexact 0
		.amdhsa_exception_int_div_zero 0
	.end_amdhsa_kernel
	.section	.text._Z16warp_load_kernelILj256ELj16ELj32ELN6hipcub17WarpLoadAlgorithmE3EiEvPT3_S3_,"axG",@progbits,_Z16warp_load_kernelILj256ELj16ELj32ELN6hipcub17WarpLoadAlgorithmE3EiEvPT3_S3_,comdat
.Lfunc_end11:
	.size	_Z16warp_load_kernelILj256ELj16ELj32ELN6hipcub17WarpLoadAlgorithmE3EiEvPT3_S3_, .Lfunc_end11-_Z16warp_load_kernelILj256ELj16ELj32ELN6hipcub17WarpLoadAlgorithmE3EiEvPT3_S3_
                                        ; -- End function
	.section	.AMDGPU.csdata,"",@progbits
; Kernel info:
; codeLenInByte = 756
; NumSgprs: 14
; NumVgprs: 59
; NumAgprs: 0
; TotalNumVgprs: 59
; ScratchSize: 0
; MemoryBound: 1
; FloatMode: 240
; IeeeMode: 1
; LDSByteSize: 16384 bytes/workgroup (compile time only)
; SGPRBlocks: 1
; VGPRBlocks: 7
; NumSGPRsForWavesPerEU: 14
; NumVGPRsForWavesPerEU: 59
; AccumOffset: 60
; Occupancy: 4
; WaveLimiterHint : 1
; COMPUTE_PGM_RSRC2:SCRATCH_EN: 0
; COMPUTE_PGM_RSRC2:USER_SGPR: 2
; COMPUTE_PGM_RSRC2:TRAP_HANDLER: 0
; COMPUTE_PGM_RSRC2:TGID_X_EN: 1
; COMPUTE_PGM_RSRC2:TGID_Y_EN: 0
; COMPUTE_PGM_RSRC2:TGID_Z_EN: 0
; COMPUTE_PGM_RSRC2:TIDIG_COMP_CNT: 0
; COMPUTE_PGM_RSRC3_GFX90A:ACCUM_OFFSET: 14
; COMPUTE_PGM_RSRC3_GFX90A:TG_SPLIT: 0
	.section	.text._Z16warp_load_kernelILj256ELj32ELj32ELN6hipcub17WarpLoadAlgorithmE0EiEvPT3_S3_,"axG",@progbits,_Z16warp_load_kernelILj256ELj32ELj32ELN6hipcub17WarpLoadAlgorithmE0EiEvPT3_S3_,comdat
	.protected	_Z16warp_load_kernelILj256ELj32ELj32ELN6hipcub17WarpLoadAlgorithmE0EiEvPT3_S3_ ; -- Begin function _Z16warp_load_kernelILj256ELj32ELj32ELN6hipcub17WarpLoadAlgorithmE0EiEvPT3_S3_
	.globl	_Z16warp_load_kernelILj256ELj32ELj32ELN6hipcub17WarpLoadAlgorithmE0EiEvPT3_S3_
	.p2align	8
	.type	_Z16warp_load_kernelILj256ELj32ELj32ELN6hipcub17WarpLoadAlgorithmE0EiEvPT3_S3_,@function
_Z16warp_load_kernelILj256ELj32ELj32ELN6hipcub17WarpLoadAlgorithmE0EiEvPT3_S3_: ; @_Z16warp_load_kernelILj256ELj32ELj32ELN6hipcub17WarpLoadAlgorithmE0EiEvPT3_S3_
; %bb.0:
	s_load_dwordx4 s[4:7], s[0:1], 0x0
	v_mbcnt_lo_u32_b32 v1, -1, 0
	v_lshlrev_b32_e32 v4, 5, v0
	v_mbcnt_hi_u32_b32 v1, -1, v1
	s_lshl_b32 s0, s2, 13
	v_and_b32_e32 v4, 0x1c00, v4
	s_waitcnt lgkmcnt(0)
	v_mov_b32_e32 v2, s4
	v_mov_b32_e32 v3, s5
	v_or_b32_e32 v34, s0, v4
	v_mov_b32_e32 v35, 0
	v_lshlrev_b32_e32 v1, 7, v1
	v_lshl_add_u64 v[2:3], v[34:35], 2, v[2:3]
	v_and_b32_e32 v34, 0xf80, v1
	v_lshl_add_u64 v[36:37], v[2:3], 0, v[34:35]
	global_load_dwordx4 v[2:5], v[36:37], off
	global_load_dwordx4 v[6:9], v[36:37], off offset:16
	global_load_dwordx4 v[10:13], v[36:37], off offset:32
	;; [unrolled: 1-line block ×7, first 2 shown]
	v_or_b32_e32 v34, s0, v0
	v_mov_b32_e32 v1, v35
	v_lshl_add_u64 v[58:59], v[34:35], 2, s[6:7]
	v_or_b32_e32 v0, 0x400, v34
	v_mov_b32_e32 v39, v35
	v_mov_b32_e32 v41, v35
	;; [unrolled: 1-line block ×11, first 2 shown]
	v_or_b32_e32 v38, 0x500, v34
	v_or_b32_e32 v40, 0x600, v34
	;; [unrolled: 1-line block ×11, first 2 shown]
	v_lshl_add_u64 v[0:1], v[0:1], 2, s[6:7]
	v_lshl_add_u64 v[38:39], v[38:39], 2, s[6:7]
	;; [unrolled: 1-line block ×12, first 2 shown]
	s_waitcnt vmcnt(7)
	global_store_dword v[58:59], v2, off
	global_store_dword v[58:59], v3, off offset:1024
	global_store_dword v[58:59], v4, off offset:2048
	;; [unrolled: 1-line block ×3, first 2 shown]
	v_mov_b32_e32 v3, v35
	v_mov_b32_e32 v5, v35
	;; [unrolled: 1-line block ×3, first 2 shown]
	v_or_b32_e32 v2, 0x1000, v34
	v_or_b32_e32 v4, 0x1100, v34
	;; [unrolled: 1-line block ×3, first 2 shown]
	v_lshl_add_u64 v[2:3], v[2:3], 2, s[6:7]
	v_lshl_add_u64 v[4:5], v[4:5], 2, s[6:7]
	v_lshl_add_u64 v[58:59], v[58:59], 2, s[6:7]
	s_waitcnt vmcnt(10)
	global_store_dword v[0:1], v6, off
	global_store_dword v[38:39], v7, off
	global_store_dword v[40:41], v8, off
	global_store_dword v[42:43], v9, off
	s_waitcnt vmcnt(13)
	global_store_dword v[44:45], v10, off
	global_store_dword v[46:47], v11, off
	global_store_dword v[48:49], v12, off
	global_store_dword v[50:51], v13, off
	;; [unrolled: 5-line block ×3, first 2 shown]
	s_waitcnt vmcnt(19)
	global_store_dword v[2:3], v18, off
	global_store_dword v[4:5], v19, off
	;; [unrolled: 1-line block ×3, first 2 shown]
	v_or_b32_e32 v0, 0x1300, v34
	v_mov_b32_e32 v1, v35
	v_lshl_add_u64 v[0:1], v[0:1], 2, s[6:7]
	global_store_dword v[0:1], v21, off
	v_or_b32_e32 v0, 0x1400, v34
	v_mov_b32_e32 v1, v35
	v_lshl_add_u64 v[0:1], v[0:1], 2, s[6:7]
	s_waitcnt vmcnt(22)
	global_store_dword v[0:1], v22, off
	v_or_b32_e32 v0, 0x1500, v34
	v_mov_b32_e32 v1, v35
	v_lshl_add_u64 v[0:1], v[0:1], 2, s[6:7]
	global_store_dword v[0:1], v23, off
	v_or_b32_e32 v0, 0x1600, v34
	v_mov_b32_e32 v1, v35
	v_lshl_add_u64 v[0:1], v[0:1], 2, s[6:7]
	;; [unrolled: 4-line block ×4, first 2 shown]
	s_waitcnt vmcnt(24)
	global_store_dword v[0:1], v30, off
	v_or_b32_e32 v0, 0x1900, v34
	v_mov_b32_e32 v1, v35
	v_lshl_add_u64 v[0:1], v[0:1], 2, s[6:7]
	global_store_dword v[0:1], v31, off
	v_or_b32_e32 v0, 0x1a00, v34
	v_mov_b32_e32 v1, v35
	v_lshl_add_u64 v[0:1], v[0:1], 2, s[6:7]
	;; [unrolled: 4-line block ×6, first 2 shown]
	v_or_b32_e32 v34, 0x1f00, v34
	global_store_dword v[0:1], v28, off
	v_lshl_add_u64 v[0:1], v[34:35], 2, s[6:7]
	global_store_dword v[0:1], v29, off
	s_endpgm
	.section	.rodata,"a",@progbits
	.p2align	6, 0x0
	.amdhsa_kernel _Z16warp_load_kernelILj256ELj32ELj32ELN6hipcub17WarpLoadAlgorithmE0EiEvPT3_S3_
		.amdhsa_group_segment_fixed_size 0
		.amdhsa_private_segment_fixed_size 0
		.amdhsa_kernarg_size 16
		.amdhsa_user_sgpr_count 2
		.amdhsa_user_sgpr_dispatch_ptr 0
		.amdhsa_user_sgpr_queue_ptr 0
		.amdhsa_user_sgpr_kernarg_segment_ptr 1
		.amdhsa_user_sgpr_dispatch_id 0
		.amdhsa_user_sgpr_kernarg_preload_length 0
		.amdhsa_user_sgpr_kernarg_preload_offset 0
		.amdhsa_user_sgpr_private_segment_size 0
		.amdhsa_uses_dynamic_stack 0
		.amdhsa_enable_private_segment 0
		.amdhsa_system_sgpr_workgroup_id_x 1
		.amdhsa_system_sgpr_workgroup_id_y 0
		.amdhsa_system_sgpr_workgroup_id_z 0
		.amdhsa_system_sgpr_workgroup_info 0
		.amdhsa_system_vgpr_workitem_id 0
		.amdhsa_next_free_vgpr 60
		.amdhsa_next_free_sgpr 8
		.amdhsa_accum_offset 60
		.amdhsa_reserve_vcc 0
		.amdhsa_float_round_mode_32 0
		.amdhsa_float_round_mode_16_64 0
		.amdhsa_float_denorm_mode_32 3
		.amdhsa_float_denorm_mode_16_64 3
		.amdhsa_dx10_clamp 1
		.amdhsa_ieee_mode 1
		.amdhsa_fp16_overflow 0
		.amdhsa_tg_split 0
		.amdhsa_exception_fp_ieee_invalid_op 0
		.amdhsa_exception_fp_denorm_src 0
		.amdhsa_exception_fp_ieee_div_zero 0
		.amdhsa_exception_fp_ieee_overflow 0
		.amdhsa_exception_fp_ieee_underflow 0
		.amdhsa_exception_fp_ieee_inexact 0
		.amdhsa_exception_int_div_zero 0
	.end_amdhsa_kernel
	.section	.text._Z16warp_load_kernelILj256ELj32ELj32ELN6hipcub17WarpLoadAlgorithmE0EiEvPT3_S3_,"axG",@progbits,_Z16warp_load_kernelILj256ELj32ELj32ELN6hipcub17WarpLoadAlgorithmE0EiEvPT3_S3_,comdat
.Lfunc_end12:
	.size	_Z16warp_load_kernelILj256ELj32ELj32ELN6hipcub17WarpLoadAlgorithmE0EiEvPT3_S3_, .Lfunc_end12-_Z16warp_load_kernelILj256ELj32ELj32ELN6hipcub17WarpLoadAlgorithmE0EiEvPT3_S3_
                                        ; -- End function
	.section	.AMDGPU.csdata,"",@progbits
; Kernel info:
; codeLenInByte = 1008
; NumSgprs: 14
; NumVgprs: 60
; NumAgprs: 0
; TotalNumVgprs: 60
; ScratchSize: 0
; MemoryBound: 0
; FloatMode: 240
; IeeeMode: 1
; LDSByteSize: 0 bytes/workgroup (compile time only)
; SGPRBlocks: 1
; VGPRBlocks: 7
; NumSGPRsForWavesPerEU: 14
; NumVGPRsForWavesPerEU: 60
; AccumOffset: 60
; Occupancy: 8
; WaveLimiterHint : 1
; COMPUTE_PGM_RSRC2:SCRATCH_EN: 0
; COMPUTE_PGM_RSRC2:USER_SGPR: 2
; COMPUTE_PGM_RSRC2:TRAP_HANDLER: 0
; COMPUTE_PGM_RSRC2:TGID_X_EN: 1
; COMPUTE_PGM_RSRC2:TGID_Y_EN: 0
; COMPUTE_PGM_RSRC2:TGID_Z_EN: 0
; COMPUTE_PGM_RSRC2:TIDIG_COMP_CNT: 0
; COMPUTE_PGM_RSRC3_GFX90A:ACCUM_OFFSET: 14
; COMPUTE_PGM_RSRC3_GFX90A:TG_SPLIT: 0
	.section	.text._Z16warp_load_kernelILj256ELj32ELj32ELN6hipcub17WarpLoadAlgorithmE1EiEvPT3_S3_,"axG",@progbits,_Z16warp_load_kernelILj256ELj32ELj32ELN6hipcub17WarpLoadAlgorithmE1EiEvPT3_S3_,comdat
	.protected	_Z16warp_load_kernelILj256ELj32ELj32ELN6hipcub17WarpLoadAlgorithmE1EiEvPT3_S3_ ; -- Begin function _Z16warp_load_kernelILj256ELj32ELj32ELN6hipcub17WarpLoadAlgorithmE1EiEvPT3_S3_
	.globl	_Z16warp_load_kernelILj256ELj32ELj32ELN6hipcub17WarpLoadAlgorithmE1EiEvPT3_S3_
	.p2align	8
	.type	_Z16warp_load_kernelILj256ELj32ELj32ELN6hipcub17WarpLoadAlgorithmE1EiEvPT3_S3_,@function
_Z16warp_load_kernelILj256ELj32ELj32ELN6hipcub17WarpLoadAlgorithmE1EiEvPT3_S3_: ; @_Z16warp_load_kernelILj256ELj32ELj32ELN6hipcub17WarpLoadAlgorithmE1EiEvPT3_S3_
; %bb.0:
	s_load_dwordx4 s[4:7], s[0:1], 0x0
	v_mbcnt_lo_u32_b32 v1, -1, 0
	v_lshlrev_b32_e32 v4, 5, v0
	v_mbcnt_hi_u32_b32 v1, -1, v1
	s_lshl_b32 s0, s2, 13
	v_and_b32_e32 v4, 0x1c00, v4
	s_waitcnt lgkmcnt(0)
	v_mov_b32_e32 v2, s4
	v_mov_b32_e32 v3, s5
	v_and_b32_e32 v1, 31, v1
	v_or_b32_e32 v4, s0, v4
	v_mov_b32_e32 v5, 0
	v_lshl_add_u64 v[2:3], v[4:5], 2, v[2:3]
	v_lshlrev_b32_e32 v4, 2, v1
	v_lshl_add_u64 v[2:3], v[2:3], 0, v[4:5]
	global_load_dword v22, v[2:3], off
	global_load_dword v23, v[2:3], off offset:128
	global_load_dword v24, v[2:3], off offset:256
	;; [unrolled: 1-line block ×31, first 2 shown]
	v_or_b32_e32 v4, s0, v0
	v_mov_b32_e32 v1, v5
	v_or_b32_e32 v0, 0x400, v4
	v_mov_b32_e32 v7, v5
	v_mov_b32_e32 v9, v5
	;; [unrolled: 1-line block ×8, first 2 shown]
	v_lshl_add_u64 v[2:3], v[4:5], 2, s[6:7]
	v_or_b32_e32 v6, 0x500, v4
	v_or_b32_e32 v8, 0x600, v4
	;; [unrolled: 1-line block ×8, first 2 shown]
	v_lshl_add_u64 v[0:1], v[0:1], 2, s[6:7]
	v_lshl_add_u64 v[6:7], v[6:7], 2, s[6:7]
	;; [unrolled: 1-line block ×9, first 2 shown]
	s_waitcnt vmcnt(31)
	global_store_dword v[2:3], v22, off
	s_waitcnt vmcnt(31)
	global_store_dword v[2:3], v23, off offset:1024
	s_waitcnt vmcnt(31)
	global_store_dword v[2:3], v24, off offset:2048
	;; [unrolled: 2-line block ×3, first 2 shown]
	s_waitcnt vmcnt(31)
	global_store_dword v[0:1], v26, off
	s_waitcnt vmcnt(31)
	global_store_dword v[6:7], v27, off
	;; [unrolled: 2-line block ×9, first 2 shown]
	v_or_b32_e32 v0, 0xd00, v4
	v_mov_b32_e32 v1, v5
	v_lshl_add_u64 v[0:1], v[0:1], 2, s[6:7]
	s_waitcnt vmcnt(31)
	global_store_dword v[0:1], v35, off
	v_or_b32_e32 v0, 0xe00, v4
	v_mov_b32_e32 v1, v5
	v_lshl_add_u64 v[0:1], v[0:1], 2, s[6:7]
	s_waitcnt vmcnt(31)
	global_store_dword v[0:1], v36, off
	;; [unrolled: 5-line block ×17, first 2 shown]
	v_or_b32_e32 v0, 0x1e00, v4
	v_mov_b32_e32 v1, v5
	v_lshl_add_u64 v[0:1], v[0:1], 2, s[6:7]
	v_or_b32_e32 v4, 0x1f00, v4
	s_waitcnt vmcnt(31)
	global_store_dword v[0:1], v52, off
	v_lshl_add_u64 v[0:1], v[4:5], 2, s[6:7]
	s_waitcnt vmcnt(31)
	global_store_dword v[0:1], v53, off
	s_endpgm
	.section	.rodata,"a",@progbits
	.p2align	6, 0x0
	.amdhsa_kernel _Z16warp_load_kernelILj256ELj32ELj32ELN6hipcub17WarpLoadAlgorithmE1EiEvPT3_S3_
		.amdhsa_group_segment_fixed_size 0
		.amdhsa_private_segment_fixed_size 0
		.amdhsa_kernarg_size 16
		.amdhsa_user_sgpr_count 2
		.amdhsa_user_sgpr_dispatch_ptr 0
		.amdhsa_user_sgpr_queue_ptr 0
		.amdhsa_user_sgpr_kernarg_segment_ptr 1
		.amdhsa_user_sgpr_dispatch_id 0
		.amdhsa_user_sgpr_kernarg_preload_length 0
		.amdhsa_user_sgpr_kernarg_preload_offset 0
		.amdhsa_user_sgpr_private_segment_size 0
		.amdhsa_uses_dynamic_stack 0
		.amdhsa_enable_private_segment 0
		.amdhsa_system_sgpr_workgroup_id_x 1
		.amdhsa_system_sgpr_workgroup_id_y 0
		.amdhsa_system_sgpr_workgroup_id_z 0
		.amdhsa_system_sgpr_workgroup_info 0
		.amdhsa_system_vgpr_workitem_id 0
		.amdhsa_next_free_vgpr 54
		.amdhsa_next_free_sgpr 8
		.amdhsa_accum_offset 56
		.amdhsa_reserve_vcc 0
		.amdhsa_float_round_mode_32 0
		.amdhsa_float_round_mode_16_64 0
		.amdhsa_float_denorm_mode_32 3
		.amdhsa_float_denorm_mode_16_64 3
		.amdhsa_dx10_clamp 1
		.amdhsa_ieee_mode 1
		.amdhsa_fp16_overflow 0
		.amdhsa_tg_split 0
		.amdhsa_exception_fp_ieee_invalid_op 0
		.amdhsa_exception_fp_denorm_src 0
		.amdhsa_exception_fp_ieee_div_zero 0
		.amdhsa_exception_fp_ieee_overflow 0
		.amdhsa_exception_fp_ieee_underflow 0
		.amdhsa_exception_fp_ieee_inexact 0
		.amdhsa_exception_int_div_zero 0
	.end_amdhsa_kernel
	.section	.text._Z16warp_load_kernelILj256ELj32ELj32ELN6hipcub17WarpLoadAlgorithmE1EiEvPT3_S3_,"axG",@progbits,_Z16warp_load_kernelILj256ELj32ELj32ELN6hipcub17WarpLoadAlgorithmE1EiEvPT3_S3_,comdat
.Lfunc_end13:
	.size	_Z16warp_load_kernelILj256ELj32ELj32ELN6hipcub17WarpLoadAlgorithmE1EiEvPT3_S3_, .Lfunc_end13-_Z16warp_load_kernelILj256ELj32ELj32ELN6hipcub17WarpLoadAlgorithmE1EiEvPT3_S3_
                                        ; -- End function
	.section	.AMDGPU.csdata,"",@progbits
; Kernel info:
; codeLenInByte = 1296
; NumSgprs: 14
; NumVgprs: 54
; NumAgprs: 0
; TotalNumVgprs: 54
; ScratchSize: 0
; MemoryBound: 0
; FloatMode: 240
; IeeeMode: 1
; LDSByteSize: 0 bytes/workgroup (compile time only)
; SGPRBlocks: 1
; VGPRBlocks: 6
; NumSGPRsForWavesPerEU: 14
; NumVGPRsForWavesPerEU: 54
; AccumOffset: 56
; Occupancy: 8
; WaveLimiterHint : 1
; COMPUTE_PGM_RSRC2:SCRATCH_EN: 0
; COMPUTE_PGM_RSRC2:USER_SGPR: 2
; COMPUTE_PGM_RSRC2:TRAP_HANDLER: 0
; COMPUTE_PGM_RSRC2:TGID_X_EN: 1
; COMPUTE_PGM_RSRC2:TGID_Y_EN: 0
; COMPUTE_PGM_RSRC2:TGID_Z_EN: 0
; COMPUTE_PGM_RSRC2:TIDIG_COMP_CNT: 0
; COMPUTE_PGM_RSRC3_GFX90A:ACCUM_OFFSET: 13
; COMPUTE_PGM_RSRC3_GFX90A:TG_SPLIT: 0
	.section	.text._Z16warp_load_kernelILj256ELj32ELj32ELN6hipcub17WarpLoadAlgorithmE2EiEvPT3_S3_,"axG",@progbits,_Z16warp_load_kernelILj256ELj32ELj32ELN6hipcub17WarpLoadAlgorithmE2EiEvPT3_S3_,comdat
	.protected	_Z16warp_load_kernelILj256ELj32ELj32ELN6hipcub17WarpLoadAlgorithmE2EiEvPT3_S3_ ; -- Begin function _Z16warp_load_kernelILj256ELj32ELj32ELN6hipcub17WarpLoadAlgorithmE2EiEvPT3_S3_
	.globl	_Z16warp_load_kernelILj256ELj32ELj32ELN6hipcub17WarpLoadAlgorithmE2EiEvPT3_S3_
	.p2align	8
	.type	_Z16warp_load_kernelILj256ELj32ELj32ELN6hipcub17WarpLoadAlgorithmE2EiEvPT3_S3_,@function
_Z16warp_load_kernelILj256ELj32ELj32ELN6hipcub17WarpLoadAlgorithmE2EiEvPT3_S3_: ; @_Z16warp_load_kernelILj256ELj32ELj32ELN6hipcub17WarpLoadAlgorithmE2EiEvPT3_S3_
; %bb.0:
	s_load_dwordx4 s[4:7], s[0:1], 0x0
	v_mbcnt_lo_u32_b32 v1, -1, 0
	v_lshlrev_b32_e32 v4, 5, v0
	v_mbcnt_hi_u32_b32 v1, -1, v1
	s_lshl_b32 s0, s2, 13
	v_and_b32_e32 v4, 0x1c00, v4
	s_waitcnt lgkmcnt(0)
	v_mov_b32_e32 v2, s4
	v_mov_b32_e32 v3, s5
	v_or_b32_e32 v34, s0, v4
	v_mov_b32_e32 v35, 0
	v_lshlrev_b32_e32 v1, 7, v1
	v_lshl_add_u64 v[2:3], v[34:35], 2, v[2:3]
	v_and_b32_e32 v34, 0xf80, v1
	v_lshl_add_u64 v[36:37], v[2:3], 0, v[34:35]
	global_load_dwordx4 v[2:5], v[36:37], off
	global_load_dwordx4 v[6:9], v[36:37], off offset:16
	global_load_dwordx4 v[10:13], v[36:37], off offset:32
	;; [unrolled: 1-line block ×7, first 2 shown]
	v_or_b32_e32 v34, s0, v0
	v_mov_b32_e32 v1, v35
	v_lshl_add_u64 v[58:59], v[34:35], 2, s[6:7]
	v_or_b32_e32 v0, 0x400, v34
	v_mov_b32_e32 v39, v35
	v_mov_b32_e32 v41, v35
	;; [unrolled: 1-line block ×11, first 2 shown]
	v_or_b32_e32 v38, 0x500, v34
	v_or_b32_e32 v40, 0x600, v34
	;; [unrolled: 1-line block ×11, first 2 shown]
	v_lshl_add_u64 v[0:1], v[0:1], 2, s[6:7]
	v_lshl_add_u64 v[38:39], v[38:39], 2, s[6:7]
	;; [unrolled: 1-line block ×12, first 2 shown]
	s_waitcnt vmcnt(7)
	global_store_dword v[58:59], v2, off
	global_store_dword v[58:59], v3, off offset:1024
	global_store_dword v[58:59], v4, off offset:2048
	;; [unrolled: 1-line block ×3, first 2 shown]
	v_mov_b32_e32 v3, v35
	v_mov_b32_e32 v5, v35
	;; [unrolled: 1-line block ×3, first 2 shown]
	v_or_b32_e32 v2, 0x1000, v34
	v_or_b32_e32 v4, 0x1100, v34
	;; [unrolled: 1-line block ×3, first 2 shown]
	v_lshl_add_u64 v[2:3], v[2:3], 2, s[6:7]
	v_lshl_add_u64 v[4:5], v[4:5], 2, s[6:7]
	;; [unrolled: 1-line block ×3, first 2 shown]
	s_waitcnt vmcnt(10)
	global_store_dword v[0:1], v6, off
	global_store_dword v[38:39], v7, off
	global_store_dword v[40:41], v8, off
	global_store_dword v[42:43], v9, off
	s_waitcnt vmcnt(13)
	global_store_dword v[44:45], v10, off
	global_store_dword v[46:47], v11, off
	global_store_dword v[48:49], v12, off
	global_store_dword v[50:51], v13, off
	;; [unrolled: 5-line block ×3, first 2 shown]
	s_waitcnt vmcnt(19)
	global_store_dword v[2:3], v18, off
	global_store_dword v[4:5], v19, off
	;; [unrolled: 1-line block ×3, first 2 shown]
	v_or_b32_e32 v0, 0x1300, v34
	v_mov_b32_e32 v1, v35
	v_lshl_add_u64 v[0:1], v[0:1], 2, s[6:7]
	global_store_dword v[0:1], v21, off
	v_or_b32_e32 v0, 0x1400, v34
	v_mov_b32_e32 v1, v35
	v_lshl_add_u64 v[0:1], v[0:1], 2, s[6:7]
	s_waitcnt vmcnt(22)
	global_store_dword v[0:1], v22, off
	v_or_b32_e32 v0, 0x1500, v34
	v_mov_b32_e32 v1, v35
	v_lshl_add_u64 v[0:1], v[0:1], 2, s[6:7]
	global_store_dword v[0:1], v23, off
	v_or_b32_e32 v0, 0x1600, v34
	v_mov_b32_e32 v1, v35
	v_lshl_add_u64 v[0:1], v[0:1], 2, s[6:7]
	global_store_dword v[0:1], v24, off
	v_or_b32_e32 v0, 0x1700, v34
	v_mov_b32_e32 v1, v35
	v_lshl_add_u64 v[0:1], v[0:1], 2, s[6:7]
	global_store_dword v[0:1], v25, off
	v_or_b32_e32 v0, 0x1800, v34
	v_mov_b32_e32 v1, v35
	v_lshl_add_u64 v[0:1], v[0:1], 2, s[6:7]
	s_waitcnt vmcnt(24)
	global_store_dword v[0:1], v30, off
	v_or_b32_e32 v0, 0x1900, v34
	v_mov_b32_e32 v1, v35
	v_lshl_add_u64 v[0:1], v[0:1], 2, s[6:7]
	global_store_dword v[0:1], v31, off
	v_or_b32_e32 v0, 0x1a00, v34
	v_mov_b32_e32 v1, v35
	v_lshl_add_u64 v[0:1], v[0:1], 2, s[6:7]
	;; [unrolled: 4-line block ×6, first 2 shown]
	v_or_b32_e32 v34, 0x1f00, v34
	global_store_dword v[0:1], v28, off
	v_lshl_add_u64 v[0:1], v[34:35], 2, s[6:7]
	global_store_dword v[0:1], v29, off
	s_endpgm
	.section	.rodata,"a",@progbits
	.p2align	6, 0x0
	.amdhsa_kernel _Z16warp_load_kernelILj256ELj32ELj32ELN6hipcub17WarpLoadAlgorithmE2EiEvPT3_S3_
		.amdhsa_group_segment_fixed_size 0
		.amdhsa_private_segment_fixed_size 0
		.amdhsa_kernarg_size 16
		.amdhsa_user_sgpr_count 2
		.amdhsa_user_sgpr_dispatch_ptr 0
		.amdhsa_user_sgpr_queue_ptr 0
		.amdhsa_user_sgpr_kernarg_segment_ptr 1
		.amdhsa_user_sgpr_dispatch_id 0
		.amdhsa_user_sgpr_kernarg_preload_length 0
		.amdhsa_user_sgpr_kernarg_preload_offset 0
		.amdhsa_user_sgpr_private_segment_size 0
		.amdhsa_uses_dynamic_stack 0
		.amdhsa_enable_private_segment 0
		.amdhsa_system_sgpr_workgroup_id_x 1
		.amdhsa_system_sgpr_workgroup_id_y 0
		.amdhsa_system_sgpr_workgroup_id_z 0
		.amdhsa_system_sgpr_workgroup_info 0
		.amdhsa_system_vgpr_workitem_id 0
		.amdhsa_next_free_vgpr 60
		.amdhsa_next_free_sgpr 8
		.amdhsa_accum_offset 60
		.amdhsa_reserve_vcc 0
		.amdhsa_float_round_mode_32 0
		.amdhsa_float_round_mode_16_64 0
		.amdhsa_float_denorm_mode_32 3
		.amdhsa_float_denorm_mode_16_64 3
		.amdhsa_dx10_clamp 1
		.amdhsa_ieee_mode 1
		.amdhsa_fp16_overflow 0
		.amdhsa_tg_split 0
		.amdhsa_exception_fp_ieee_invalid_op 0
		.amdhsa_exception_fp_denorm_src 0
		.amdhsa_exception_fp_ieee_div_zero 0
		.amdhsa_exception_fp_ieee_overflow 0
		.amdhsa_exception_fp_ieee_underflow 0
		.amdhsa_exception_fp_ieee_inexact 0
		.amdhsa_exception_int_div_zero 0
	.end_amdhsa_kernel
	.section	.text._Z16warp_load_kernelILj256ELj32ELj32ELN6hipcub17WarpLoadAlgorithmE2EiEvPT3_S3_,"axG",@progbits,_Z16warp_load_kernelILj256ELj32ELj32ELN6hipcub17WarpLoadAlgorithmE2EiEvPT3_S3_,comdat
.Lfunc_end14:
	.size	_Z16warp_load_kernelILj256ELj32ELj32ELN6hipcub17WarpLoadAlgorithmE2EiEvPT3_S3_, .Lfunc_end14-_Z16warp_load_kernelILj256ELj32ELj32ELN6hipcub17WarpLoadAlgorithmE2EiEvPT3_S3_
                                        ; -- End function
	.section	.AMDGPU.csdata,"",@progbits
; Kernel info:
; codeLenInByte = 1008
; NumSgprs: 14
; NumVgprs: 60
; NumAgprs: 0
; TotalNumVgprs: 60
; ScratchSize: 0
; MemoryBound: 0
; FloatMode: 240
; IeeeMode: 1
; LDSByteSize: 0 bytes/workgroup (compile time only)
; SGPRBlocks: 1
; VGPRBlocks: 7
; NumSGPRsForWavesPerEU: 14
; NumVGPRsForWavesPerEU: 60
; AccumOffset: 60
; Occupancy: 8
; WaveLimiterHint : 1
; COMPUTE_PGM_RSRC2:SCRATCH_EN: 0
; COMPUTE_PGM_RSRC2:USER_SGPR: 2
; COMPUTE_PGM_RSRC2:TRAP_HANDLER: 0
; COMPUTE_PGM_RSRC2:TGID_X_EN: 1
; COMPUTE_PGM_RSRC2:TGID_Y_EN: 0
; COMPUTE_PGM_RSRC2:TGID_Z_EN: 0
; COMPUTE_PGM_RSRC2:TIDIG_COMP_CNT: 0
; COMPUTE_PGM_RSRC3_GFX90A:ACCUM_OFFSET: 14
; COMPUTE_PGM_RSRC3_GFX90A:TG_SPLIT: 0
	.section	.text._Z16warp_load_kernelILj256ELj32ELj32ELN6hipcub17WarpLoadAlgorithmE3EiEvPT3_S3_,"axG",@progbits,_Z16warp_load_kernelILj256ELj32ELj32ELN6hipcub17WarpLoadAlgorithmE3EiEvPT3_S3_,comdat
	.protected	_Z16warp_load_kernelILj256ELj32ELj32ELN6hipcub17WarpLoadAlgorithmE3EiEvPT3_S3_ ; -- Begin function _Z16warp_load_kernelILj256ELj32ELj32ELN6hipcub17WarpLoadAlgorithmE3EiEvPT3_S3_
	.globl	_Z16warp_load_kernelILj256ELj32ELj32ELN6hipcub17WarpLoadAlgorithmE3EiEvPT3_S3_
	.p2align	8
	.type	_Z16warp_load_kernelILj256ELj32ELj32ELN6hipcub17WarpLoadAlgorithmE3EiEvPT3_S3_,@function
_Z16warp_load_kernelILj256ELj32ELj32ELN6hipcub17WarpLoadAlgorithmE3EiEvPT3_S3_: ; @_Z16warp_load_kernelILj256ELj32ELj32ELN6hipcub17WarpLoadAlgorithmE3EiEvPT3_S3_
; %bb.0:
	s_load_dwordx4 s[4:7], s[0:1], 0x0
	v_mbcnt_lo_u32_b32 v1, -1, 0
	v_lshrrev_b32_e32 v6, 5, v0
	v_mbcnt_hi_u32_b32 v1, -1, v1
	s_lshl_b32 s0, s2, 13
	s_waitcnt lgkmcnt(0)
	v_mov_b32_e32 v4, s4
	v_mov_b32_e32 v5, s5
	v_and_b32_e32 v7, 31, v1
	v_lshl_or_b32 v2, v6, 10, s0
	v_mov_b32_e32 v3, 0
	v_lshl_add_u64 v[4:5], v[2:3], 2, v[4:5]
	v_lshlrev_b32_e32 v2, 2, v7
	v_lshl_add_u64 v[4:5], v[4:5], 0, v[2:3]
	global_load_dword v8, v[4:5], off
	global_load_dword v9, v[4:5], off offset:128
	global_load_dword v10, v[4:5], off offset:256
	;; [unrolled: 1-line block ×31, first 2 shown]
	v_lshl_or_b32 v6, v6, 12, v2
	v_or_b32_e32 v2, s0, v0
	s_movk_i32 s1, 0x7c
	v_mov_b32_e32 v1, v3
	v_or_b32_e32 v0, 0x400, v2
	v_mov_b32_e32 v5, v3
	v_add_u32_e32 v45, 0x400, v6
	v_add_u32_e32 v46, 0x800, v6
	;; [unrolled: 1-line block ×3, first 2 shown]
	v_mad_u32_u24 v48, v7, s1, v6
	v_lshl_add_u64 v[36:37], v[2:3], 2, s[6:7]
	v_or_b32_e32 v4, 0x500, v2
	v_or_b32_e32 v38, 0x600, v2
	v_lshl_add_u64 v[0:1], v[0:1], 2, s[6:7]
	v_lshl_add_u64 v[40:41], v[4:5], 2, s[6:7]
	s_waitcnt vmcnt(30)
	ds_write2_b32 v6, v8, v9 offset1:32
	s_waitcnt vmcnt(28)
	ds_write2_b32 v6, v10, v11 offset0:64 offset1:96
	s_waitcnt vmcnt(26)
	ds_write2_b32 v6, v12, v13 offset0:128 offset1:160
	s_waitcnt vmcnt(24)
	ds_write2_b32 v6, v14, v15 offset0:192 offset1:224
	s_waitcnt vmcnt(22)
	ds_write2_b32 v45, v16, v17 offset1:32
	s_waitcnt vmcnt(20)
	ds_write2_b32 v45, v18, v19 offset0:64 offset1:96
	s_waitcnt vmcnt(18)
	ds_write2_b32 v45, v20, v21 offset0:128 offset1:160
	s_waitcnt vmcnt(16)
	ds_write2_b32 v45, v22, v23 offset0:192 offset1:224
	;; [unrolled: 8-line block ×4, first 2 shown]
	v_mov_b32_e32 v39, v3
	; wave barrier
	ds_read_b128 v[4:7], v48
	ds_read_b128 v[8:11], v48 offset:16
	ds_read_b128 v[12:15], v48 offset:32
	;; [unrolled: 1-line block ×7, first 2 shown]
	s_waitcnt lgkmcnt(7)
	global_store_dword v[36:37], v4, off
	global_store_dword v[36:37], v5, off offset:1024
	global_store_dword v[36:37], v6, off offset:2048
	;; [unrolled: 1-line block ×3, first 2 shown]
	s_waitcnt lgkmcnt(6)
	global_store_dword v[0:1], v8, off
	global_store_dword v[40:41], v9, off
	v_lshl_add_u64 v[0:1], v[38:39], 2, s[6:7]
	global_store_dword v[0:1], v10, off
	v_or_b32_e32 v0, 0x700, v2
	v_mov_b32_e32 v1, v3
	v_lshl_add_u64 v[0:1], v[0:1], 2, s[6:7]
	global_store_dword v[0:1], v11, off
	v_or_b32_e32 v0, 0x800, v2
	v_mov_b32_e32 v1, v3
	v_lshl_add_u64 v[0:1], v[0:1], 2, s[6:7]
	s_waitcnt lgkmcnt(5)
	global_store_dword v[0:1], v12, off
	v_or_b32_e32 v0, 0x900, v2
	v_mov_b32_e32 v1, v3
	v_lshl_add_u64 v[0:1], v[0:1], 2, s[6:7]
	global_store_dword v[0:1], v13, off
	v_or_b32_e32 v0, 0xa00, v2
	v_mov_b32_e32 v1, v3
	v_lshl_add_u64 v[0:1], v[0:1], 2, s[6:7]
	global_store_dword v[0:1], v14, off
	v_or_b32_e32 v0, 0xb00, v2
	v_mov_b32_e32 v1, v3
	v_lshl_add_u64 v[0:1], v[0:1], 2, s[6:7]
	global_store_dword v[0:1], v15, off
	v_or_b32_e32 v0, 0xc00, v2
	v_mov_b32_e32 v1, v3
	v_lshl_add_u64 v[0:1], v[0:1], 2, s[6:7]
	s_waitcnt lgkmcnt(4)
	global_store_dword v[0:1], v16, off
	v_or_b32_e32 v0, 0xd00, v2
	v_mov_b32_e32 v1, v3
	v_lshl_add_u64 v[0:1], v[0:1], 2, s[6:7]
	global_store_dword v[0:1], v17, off
	v_or_b32_e32 v0, 0xe00, v2
	v_mov_b32_e32 v1, v3
	;; [unrolled: 17-line block ×6, first 2 shown]
	v_lshl_add_u64 v[0:1], v[0:1], 2, s[6:7]
	v_or_b32_e32 v2, 0x1f00, v2
	global_store_dword v[0:1], v34, off
	v_lshl_add_u64 v[0:1], v[2:3], 2, s[6:7]
	global_store_dword v[0:1], v35, off
	s_endpgm
	.section	.rodata,"a",@progbits
	.p2align	6, 0x0
	.amdhsa_kernel _Z16warp_load_kernelILj256ELj32ELj32ELN6hipcub17WarpLoadAlgorithmE3EiEvPT3_S3_
		.amdhsa_group_segment_fixed_size 32768
		.amdhsa_private_segment_fixed_size 0
		.amdhsa_kernarg_size 16
		.amdhsa_user_sgpr_count 2
		.amdhsa_user_sgpr_dispatch_ptr 0
		.amdhsa_user_sgpr_queue_ptr 0
		.amdhsa_user_sgpr_kernarg_segment_ptr 1
		.amdhsa_user_sgpr_dispatch_id 0
		.amdhsa_user_sgpr_kernarg_preload_length 0
		.amdhsa_user_sgpr_kernarg_preload_offset 0
		.amdhsa_user_sgpr_private_segment_size 0
		.amdhsa_uses_dynamic_stack 0
		.amdhsa_enable_private_segment 0
		.amdhsa_system_sgpr_workgroup_id_x 1
		.amdhsa_system_sgpr_workgroup_id_y 0
		.amdhsa_system_sgpr_workgroup_id_z 0
		.amdhsa_system_sgpr_workgroup_info 0
		.amdhsa_system_vgpr_workitem_id 0
		.amdhsa_next_free_vgpr 49
		.amdhsa_next_free_sgpr 8
		.amdhsa_accum_offset 52
		.amdhsa_reserve_vcc 0
		.amdhsa_float_round_mode_32 0
		.amdhsa_float_round_mode_16_64 0
		.amdhsa_float_denorm_mode_32 3
		.amdhsa_float_denorm_mode_16_64 3
		.amdhsa_dx10_clamp 1
		.amdhsa_ieee_mode 1
		.amdhsa_fp16_overflow 0
		.amdhsa_tg_split 0
		.amdhsa_exception_fp_ieee_invalid_op 0
		.amdhsa_exception_fp_denorm_src 0
		.amdhsa_exception_fp_ieee_div_zero 0
		.amdhsa_exception_fp_ieee_overflow 0
		.amdhsa_exception_fp_ieee_underflow 0
		.amdhsa_exception_fp_ieee_inexact 0
		.amdhsa_exception_int_div_zero 0
	.end_amdhsa_kernel
	.section	.text._Z16warp_load_kernelILj256ELj32ELj32ELN6hipcub17WarpLoadAlgorithmE3EiEvPT3_S3_,"axG",@progbits,_Z16warp_load_kernelILj256ELj32ELj32ELN6hipcub17WarpLoadAlgorithmE3EiEvPT3_S3_,comdat
.Lfunc_end15:
	.size	_Z16warp_load_kernelILj256ELj32ELj32ELN6hipcub17WarpLoadAlgorithmE3EiEvPT3_S3_, .Lfunc_end15-_Z16warp_load_kernelILj256ELj32ELj32ELN6hipcub17WarpLoadAlgorithmE3EiEvPT3_S3_
                                        ; -- End function
	.section	.AMDGPU.csdata,"",@progbits
; Kernel info:
; codeLenInByte = 1496
; NumSgprs: 14
; NumVgprs: 49
; NumAgprs: 0
; TotalNumVgprs: 49
; ScratchSize: 0
; MemoryBound: 1
; FloatMode: 240
; IeeeMode: 1
; LDSByteSize: 32768 bytes/workgroup (compile time only)
; SGPRBlocks: 1
; VGPRBlocks: 6
; NumSGPRsForWavesPerEU: 14
; NumVGPRsForWavesPerEU: 49
; AccumOffset: 52
; Occupancy: 2
; WaveLimiterHint : 1
; COMPUTE_PGM_RSRC2:SCRATCH_EN: 0
; COMPUTE_PGM_RSRC2:USER_SGPR: 2
; COMPUTE_PGM_RSRC2:TRAP_HANDLER: 0
; COMPUTE_PGM_RSRC2:TGID_X_EN: 1
; COMPUTE_PGM_RSRC2:TGID_Y_EN: 0
; COMPUTE_PGM_RSRC2:TGID_Z_EN: 0
; COMPUTE_PGM_RSRC2:TIDIG_COMP_CNT: 0
; COMPUTE_PGM_RSRC3_GFX90A:ACCUM_OFFSET: 12
; COMPUTE_PGM_RSRC3_GFX90A:TG_SPLIT: 0
	.section	.text._Z16warp_load_kernelILj256ELj64ELj32ELN6hipcub17WarpLoadAlgorithmE0EiEvPT3_S3_,"axG",@progbits,_Z16warp_load_kernelILj256ELj64ELj32ELN6hipcub17WarpLoadAlgorithmE0EiEvPT3_S3_,comdat
	.protected	_Z16warp_load_kernelILj256ELj64ELj32ELN6hipcub17WarpLoadAlgorithmE0EiEvPT3_S3_ ; -- Begin function _Z16warp_load_kernelILj256ELj64ELj32ELN6hipcub17WarpLoadAlgorithmE0EiEvPT3_S3_
	.globl	_Z16warp_load_kernelILj256ELj64ELj32ELN6hipcub17WarpLoadAlgorithmE0EiEvPT3_S3_
	.p2align	8
	.type	_Z16warp_load_kernelILj256ELj64ELj32ELN6hipcub17WarpLoadAlgorithmE0EiEvPT3_S3_,@function
_Z16warp_load_kernelILj256ELj64ELj32ELN6hipcub17WarpLoadAlgorithmE0EiEvPT3_S3_: ; @_Z16warp_load_kernelILj256ELj64ELj32ELN6hipcub17WarpLoadAlgorithmE0EiEvPT3_S3_
; %bb.0:
	s_load_dwordx4 s[4:7], s[0:1], 0x0
	v_mbcnt_lo_u32_b32 v1, -1, 0
	v_lshlrev_b32_e32 v4, 6, v0
	v_mbcnt_hi_u32_b32 v1, -1, v1
	s_lshl_b32 s0, s2, 14
	v_and_b32_e32 v4, 0x3800, v4
	s_waitcnt lgkmcnt(0)
	v_mov_b32_e32 v2, s4
	v_mov_b32_e32 v3, s5
	v_or_b32_e32 v28, s0, v4
	v_mov_b32_e32 v29, 0
	v_lshlrev_b32_e32 v1, 8, v1
	v_lshl_add_u64 v[2:3], v[28:29], 2, v[2:3]
	v_and_b32_e32 v28, 0x1f00, v1
	v_lshl_add_u64 v[66:67], v[2:3], 0, v[28:29]
	global_load_dwordx4 v[30:33], v[66:67], off
	global_load_dwordx4 v[34:37], v[66:67], off offset:16
	global_load_dwordx4 v[38:41], v[66:67], off offset:32
	;; [unrolled: 1-line block ×4, first 2 shown]
	v_or_b32_e32 v28, s0, v0
	global_load_dwordx4 v[50:53], v[66:67], off offset:80
	global_load_dwordx4 v[54:57], v[66:67], off offset:112
	;; [unrolled: 1-line block ×11, first 2 shown]
	v_lshl_add_u64 v[66:67], v[28:29], 2, s[6:7]
	s_waitcnt vmcnt(15)
	global_store_dword v[66:67], v30, off
	global_store_dword v[66:67], v31, off offset:1024
	global_store_dword v[66:67], v32, off offset:2048
	;; [unrolled: 1-line block ×3, first 2 shown]
	v_mov_b32_e32 v31, v29
	v_or_b32_e32 v30, 0x400, v28
	v_lshl_add_u64 v[30:31], v[30:31], 2, s[6:7]
	v_mov_b32_e32 v33, v29
	s_waitcnt vmcnt(18)
	global_store_dword v[30:31], v34, off
	v_mov_b32_e32 v31, v29
	v_or_b32_e32 v32, 0x500, v28
	v_or_b32_e32 v30, 0x700, v28
	v_mov_b32_e32 v67, v29
	v_lshl_add_u64 v[32:33], v[32:33], 2, s[6:7]
	v_or_b32_e32 v66, 0x600, v28
	v_lshl_add_u64 v[30:31], v[30:31], 2, s[6:7]
	global_store_dword v[32:33], v35, off
	v_lshl_add_u64 v[34:35], v[66:67], 2, s[6:7]
	global_store_dword v[30:31], v37, off
	v_mov_b32_e32 v31, v29
	v_or_b32_e32 v30, 0xa00, v28
	v_mov_b32_e32 v33, v29
	global_store_dword v[34:35], v36, off
	v_mov_b32_e32 v35, v29
	v_mov_b32_e32 v37, v29
	v_or_b32_e32 v32, 0x800, v28
	v_or_b32_e32 v34, 0x900, v28
	v_lshl_add_u64 v[30:31], v[30:31], 2, s[6:7]
	v_or_b32_e32 v36, 0xb00, v28
	v_lshl_add_u64 v[32:33], v[32:33], 2, s[6:7]
	v_lshl_add_u64 v[34:35], v[34:35], 2, s[6:7]
	s_waitcnt vmcnt(21)
	global_store_dword v[30:31], v40, off
	v_mov_b32_e32 v31, v29
	v_lshl_add_u64 v[36:37], v[36:37], 2, s[6:7]
	v_or_b32_e32 v66, 0xc00, v28
	v_or_b32_e32 v30, 0xf00, v28
	global_store_dword v[32:33], v38, off
	v_mov_b32_e32 v33, v29
	global_store_dword v[34:35], v39, off
	v_mov_b32_e32 v35, v29
	;; [unrolled: 2-line block ×3, first 2 shown]
	v_or_b32_e32 v32, 0xd00, v28
	v_or_b32_e32 v34, 0xe00, v28
	;; [unrolled: 1-line block ×3, first 2 shown]
	v_lshl_add_u64 v[38:39], v[66:67], 2, s[6:7]
	v_lshl_add_u64 v[30:31], v[30:31], 2, s[6:7]
	;; [unrolled: 1-line block ×5, first 2 shown]
	s_waitcnt vmcnt(24)
	global_store_dword v[38:39], v42, off
	global_store_dword v[32:33], v43, off
	;; [unrolled: 1-line block ×4, first 2 shown]
	s_waitcnt vmcnt(27)
	global_store_dword v[36:37], v46, off
	v_or_b32_e32 v30, 0x1100, v28
	v_mov_b32_e32 v31, v29
	v_lshl_add_u64 v[30:31], v[30:31], 2, s[6:7]
	global_store_dword v[30:31], v47, off
	v_or_b32_e32 v30, 0x1200, v28
	v_mov_b32_e32 v31, v29
	v_lshl_add_u64 v[30:31], v[30:31], 2, s[6:7]
	global_store_dword v[30:31], v48, off
	v_or_b32_e32 v30, 0x1300, v28
	v_mov_b32_e32 v31, v29
	v_lshl_add_u64 v[30:31], v[30:31], 2, s[6:7]
	global_store_dword v[30:31], v49, off
	v_or_b32_e32 v30, 0x1400, v28
	v_mov_b32_e32 v31, v29
	v_lshl_add_u64 v[30:31], v[30:31], 2, s[6:7]
	s_waitcnt vmcnt(30)
	global_store_dword v[30:31], v50, off
	v_or_b32_e32 v30, 0x1500, v28
	v_mov_b32_e32 v31, v29
	v_lshl_add_u64 v[30:31], v[30:31], 2, s[6:7]
	global_store_dword v[30:31], v51, off
	v_or_b32_e32 v30, 0x1600, v28
	v_mov_b32_e32 v31, v29
	v_lshl_add_u64 v[30:31], v[30:31], 2, s[6:7]
	global_store_dword v[30:31], v52, off
	v_or_b32_e32 v30, 0x1700, v28
	v_mov_b32_e32 v31, v29
	v_lshl_add_u64 v[30:31], v[30:31], 2, s[6:7]
	global_store_dword v[30:31], v53, off
	v_or_b32_e32 v30, 0x1800, v28
	v_mov_b32_e32 v31, v29
	v_lshl_add_u64 v[30:31], v[30:31], 2, s[6:7]
	;; [unrolled: 17-line block ×3, first 2 shown]
	global_store_dword v[30:31], v54, off
	v_or_b32_e32 v30, 0x1d00, v28
	v_mov_b32_e32 v31, v29
	v_lshl_add_u64 v[30:31], v[30:31], 2, s[6:7]
	global_store_dword v[30:31], v55, off
	v_or_b32_e32 v30, 0x1e00, v28
	v_mov_b32_e32 v31, v29
	v_lshl_add_u64 v[30:31], v[30:31], 2, s[6:7]
	;; [unrolled: 4-line block ×4, first 2 shown]
	s_waitcnt vmcnt(36)
	global_store_dword v[30:31], v62, off
	v_or_b32_e32 v30, 0x2100, v28
	v_mov_b32_e32 v31, v29
	v_lshl_add_u64 v[30:31], v[30:31], 2, s[6:7]
	global_store_dword v[30:31], v63, off
	v_or_b32_e32 v30, 0x2200, v28
	v_mov_b32_e32 v31, v29
	v_lshl_add_u64 v[30:31], v[30:31], 2, s[6:7]
	;; [unrolled: 4-line block ×16, first 2 shown]
	s_waitcnt vmcnt(48)
	global_store_dword v[16:17], v12, off
	v_or_b32_e32 v16, 0x3100, v28
	v_mov_b32_e32 v17, v29
	v_lshl_add_u64 v[16:17], v[16:17], 2, s[6:7]
	global_store_dword v[16:17], v13, off
	v_or_b32_e32 v12, 0x3200, v28
	v_mov_b32_e32 v13, v29
	v_lshl_add_u64 v[12:13], v[12:13], 2, s[6:7]
	;; [unrolled: 4-line block ×14, first 2 shown]
	v_or_b32_e32 v28, 0x3f00, v28
	global_store_dword v[0:1], v2, off
	v_lshl_add_u64 v[0:1], v[28:29], 2, s[6:7]
	global_store_dword v[0:1], v3, off
	s_endpgm
	.section	.rodata,"a",@progbits
	.p2align	6, 0x0
	.amdhsa_kernel _Z16warp_load_kernelILj256ELj64ELj32ELN6hipcub17WarpLoadAlgorithmE0EiEvPT3_S3_
		.amdhsa_group_segment_fixed_size 0
		.amdhsa_private_segment_fixed_size 0
		.amdhsa_kernarg_size 16
		.amdhsa_user_sgpr_count 2
		.amdhsa_user_sgpr_dispatch_ptr 0
		.amdhsa_user_sgpr_queue_ptr 0
		.amdhsa_user_sgpr_kernarg_segment_ptr 1
		.amdhsa_user_sgpr_dispatch_id 0
		.amdhsa_user_sgpr_kernarg_preload_length 0
		.amdhsa_user_sgpr_kernarg_preload_offset 0
		.amdhsa_user_sgpr_private_segment_size 0
		.amdhsa_uses_dynamic_stack 0
		.amdhsa_enable_private_segment 0
		.amdhsa_system_sgpr_workgroup_id_x 1
		.amdhsa_system_sgpr_workgroup_id_y 0
		.amdhsa_system_sgpr_workgroup_id_z 0
		.amdhsa_system_sgpr_workgroup_info 0
		.amdhsa_system_vgpr_workitem_id 0
		.amdhsa_next_free_vgpr 68
		.amdhsa_next_free_sgpr 8
		.amdhsa_accum_offset 68
		.amdhsa_reserve_vcc 0
		.amdhsa_float_round_mode_32 0
		.amdhsa_float_round_mode_16_64 0
		.amdhsa_float_denorm_mode_32 3
		.amdhsa_float_denorm_mode_16_64 3
		.amdhsa_dx10_clamp 1
		.amdhsa_ieee_mode 1
		.amdhsa_fp16_overflow 0
		.amdhsa_tg_split 0
		.amdhsa_exception_fp_ieee_invalid_op 0
		.amdhsa_exception_fp_denorm_src 0
		.amdhsa_exception_fp_ieee_div_zero 0
		.amdhsa_exception_fp_ieee_overflow 0
		.amdhsa_exception_fp_ieee_underflow 0
		.amdhsa_exception_fp_ieee_inexact 0
		.amdhsa_exception_int_div_zero 0
	.end_amdhsa_kernel
	.section	.text._Z16warp_load_kernelILj256ELj64ELj32ELN6hipcub17WarpLoadAlgorithmE0EiEvPT3_S3_,"axG",@progbits,_Z16warp_load_kernelILj256ELj64ELj32ELN6hipcub17WarpLoadAlgorithmE0EiEvPT3_S3_,comdat
.Lfunc_end16:
	.size	_Z16warp_load_kernelILj256ELj64ELj32ELN6hipcub17WarpLoadAlgorithmE0EiEvPT3_S3_, .Lfunc_end16-_Z16warp_load_kernelILj256ELj64ELj32ELN6hipcub17WarpLoadAlgorithmE0EiEvPT3_S3_
                                        ; -- End function
	.section	.AMDGPU.csdata,"",@progbits
; Kernel info:
; codeLenInByte = 1972
; NumSgprs: 14
; NumVgprs: 68
; NumAgprs: 0
; TotalNumVgprs: 68
; ScratchSize: 0
; MemoryBound: 0
; FloatMode: 240
; IeeeMode: 1
; LDSByteSize: 0 bytes/workgroup (compile time only)
; SGPRBlocks: 1
; VGPRBlocks: 8
; NumSGPRsForWavesPerEU: 14
; NumVGPRsForWavesPerEU: 68
; AccumOffset: 68
; Occupancy: 7
; WaveLimiterHint : 1
; COMPUTE_PGM_RSRC2:SCRATCH_EN: 0
; COMPUTE_PGM_RSRC2:USER_SGPR: 2
; COMPUTE_PGM_RSRC2:TRAP_HANDLER: 0
; COMPUTE_PGM_RSRC2:TGID_X_EN: 1
; COMPUTE_PGM_RSRC2:TGID_Y_EN: 0
; COMPUTE_PGM_RSRC2:TGID_Z_EN: 0
; COMPUTE_PGM_RSRC2:TIDIG_COMP_CNT: 0
; COMPUTE_PGM_RSRC3_GFX90A:ACCUM_OFFSET: 16
; COMPUTE_PGM_RSRC3_GFX90A:TG_SPLIT: 0
	.section	.text._Z16warp_load_kernelILj256ELj64ELj32ELN6hipcub17WarpLoadAlgorithmE1EiEvPT3_S3_,"axG",@progbits,_Z16warp_load_kernelILj256ELj64ELj32ELN6hipcub17WarpLoadAlgorithmE1EiEvPT3_S3_,comdat
	.protected	_Z16warp_load_kernelILj256ELj64ELj32ELN6hipcub17WarpLoadAlgorithmE1EiEvPT3_S3_ ; -- Begin function _Z16warp_load_kernelILj256ELj64ELj32ELN6hipcub17WarpLoadAlgorithmE1EiEvPT3_S3_
	.globl	_Z16warp_load_kernelILj256ELj64ELj32ELN6hipcub17WarpLoadAlgorithmE1EiEvPT3_S3_
	.p2align	8
	.type	_Z16warp_load_kernelILj256ELj64ELj32ELN6hipcub17WarpLoadAlgorithmE1EiEvPT3_S3_,@function
_Z16warp_load_kernelILj256ELj64ELj32ELN6hipcub17WarpLoadAlgorithmE1EiEvPT3_S3_: ; @_Z16warp_load_kernelILj256ELj64ELj32ELN6hipcub17WarpLoadAlgorithmE1EiEvPT3_S3_
; %bb.0:
	s_load_dwordx4 s[4:7], s[0:1], 0x0
	v_mbcnt_lo_u32_b32 v1, -1, 0
	v_lshlrev_b32_e32 v2, 6, v0
	v_mbcnt_hi_u32_b32 v1, -1, v1
	s_lshl_b32 s0, s2, 14
	v_and_b32_e32 v2, 0x3800, v2
	s_waitcnt lgkmcnt(0)
	v_mov_b32_e32 v4, s4
	v_mov_b32_e32 v5, s5
	v_and_b32_e32 v1, 31, v1
	v_or_b32_e32 v2, s0, v2
	v_mov_b32_e32 v3, 0
	v_lshl_add_u64 v[4:5], v[2:3], 2, v[4:5]
	v_lshlrev_b32_e32 v2, 2, v1
	v_lshl_add_u64 v[4:5], v[4:5], 0, v[2:3]
	global_load_dword v6, v[4:5], off
	global_load_dword v7, v[4:5], off offset:128
	global_load_dword v8, v[4:5], off offset:256
	;; [unrolled: 1-line block ×31, first 2 shown]
	s_movk_i32 s1, 0x1000
	v_or_b32_e32 v2, s0, v0
	v_add_co_u32_e32 v0, vcc, s1, v4
	s_nop 1
	v_addc_co_u32_e32 v1, vcc, 0, v5, vcc
	global_load_dword v4, v[0:1], off
	global_load_dword v5, v[0:1], off offset:128
	global_load_dword v38, v[0:1], off offset:256
	;; [unrolled: 1-line block ×31, first 2 shown]
	v_lshl_add_u64 v[0:1], v[2:3], 2, s[6:7]
	s_waitcnt vmcnt(62)
	global_store_dword v[0:1], v6, off
	global_store_dword v[0:1], v7, off offset:1024
	s_waitcnt vmcnt(62)
	global_store_dword v[0:1], v8, off offset:2048
	global_store_dword v[0:1], v9, off offset:3072
	v_or_b32_e32 v0, 0x400, v2
	v_mov_b32_e32 v1, v3
	v_lshl_add_u64 v[0:1], v[0:1], 2, s[6:7]
	s_waitcnt vmcnt(62)
	global_store_dword v[0:1], v10, off
	v_or_b32_e32 v0, 0x500, v2
	v_mov_b32_e32 v1, v3
	v_lshl_add_u64 v[0:1], v[0:1], 2, s[6:7]
	global_store_dword v[0:1], v11, off
	v_or_b32_e32 v0, 0x600, v2
	v_mov_b32_e32 v1, v3
	v_lshl_add_u64 v[0:1], v[0:1], 2, s[6:7]
	s_waitcnt vmcnt(62)
	global_store_dword v[0:1], v12, off
	v_or_b32_e32 v0, 0x700, v2
	v_mov_b32_e32 v1, v3
	v_lshl_add_u64 v[0:1], v[0:1], 2, s[6:7]
	global_store_dword v[0:1], v13, off
	;; [unrolled: 9-line block ×29, first 2 shown]
	v_or_b32_e32 v0, 0x3e00, v2
	v_mov_b32_e32 v1, v3
	v_lshl_add_u64 v[0:1], v[0:1], 2, s[6:7]
	v_or_b32_e32 v2, 0x3f00, v2
	s_waitcnt vmcnt(62)
	global_store_dword v[0:1], v66, off
	v_lshl_add_u64 v[0:1], v[2:3], 2, s[6:7]
	global_store_dword v[0:1], v67, off
	s_endpgm
	.section	.rodata,"a",@progbits
	.p2align	6, 0x0
	.amdhsa_kernel _Z16warp_load_kernelILj256ELj64ELj32ELN6hipcub17WarpLoadAlgorithmE1EiEvPT3_S3_
		.amdhsa_group_segment_fixed_size 0
		.amdhsa_private_segment_fixed_size 0
		.amdhsa_kernarg_size 16
		.amdhsa_user_sgpr_count 2
		.amdhsa_user_sgpr_dispatch_ptr 0
		.amdhsa_user_sgpr_queue_ptr 0
		.amdhsa_user_sgpr_kernarg_segment_ptr 1
		.amdhsa_user_sgpr_dispatch_id 0
		.amdhsa_user_sgpr_kernarg_preload_length 0
		.amdhsa_user_sgpr_kernarg_preload_offset 0
		.amdhsa_user_sgpr_private_segment_size 0
		.amdhsa_uses_dynamic_stack 0
		.amdhsa_enable_private_segment 0
		.amdhsa_system_sgpr_workgroup_id_x 1
		.amdhsa_system_sgpr_workgroup_id_y 0
		.amdhsa_system_sgpr_workgroup_id_z 0
		.amdhsa_system_sgpr_workgroup_info 0
		.amdhsa_system_vgpr_workitem_id 0
		.amdhsa_next_free_vgpr 68
		.amdhsa_next_free_sgpr 8
		.amdhsa_accum_offset 68
		.amdhsa_reserve_vcc 1
		.amdhsa_float_round_mode_32 0
		.amdhsa_float_round_mode_16_64 0
		.amdhsa_float_denorm_mode_32 3
		.amdhsa_float_denorm_mode_16_64 3
		.amdhsa_dx10_clamp 1
		.amdhsa_ieee_mode 1
		.amdhsa_fp16_overflow 0
		.amdhsa_tg_split 0
		.amdhsa_exception_fp_ieee_invalid_op 0
		.amdhsa_exception_fp_denorm_src 0
		.amdhsa_exception_fp_ieee_div_zero 0
		.amdhsa_exception_fp_ieee_overflow 0
		.amdhsa_exception_fp_ieee_underflow 0
		.amdhsa_exception_fp_ieee_inexact 0
		.amdhsa_exception_int_div_zero 0
	.end_amdhsa_kernel
	.section	.text._Z16warp_load_kernelILj256ELj64ELj32ELN6hipcub17WarpLoadAlgorithmE1EiEvPT3_S3_,"axG",@progbits,_Z16warp_load_kernelILj256ELj64ELj32ELN6hipcub17WarpLoadAlgorithmE1EiEvPT3_S3_,comdat
.Lfunc_end17:
	.size	_Z16warp_load_kernelILj256ELj64ELj32ELN6hipcub17WarpLoadAlgorithmE1EiEvPT3_S3_, .Lfunc_end17-_Z16warp_load_kernelILj256ELj64ELj32ELN6hipcub17WarpLoadAlgorithmE1EiEvPT3_S3_
                                        ; -- End function
	.section	.AMDGPU.csdata,"",@progbits
; Kernel info:
; codeLenInByte = 2464
; NumSgprs: 14
; NumVgprs: 68
; NumAgprs: 0
; TotalNumVgprs: 68
; ScratchSize: 0
; MemoryBound: 0
; FloatMode: 240
; IeeeMode: 1
; LDSByteSize: 0 bytes/workgroup (compile time only)
; SGPRBlocks: 1
; VGPRBlocks: 8
; NumSGPRsForWavesPerEU: 14
; NumVGPRsForWavesPerEU: 68
; AccumOffset: 68
; Occupancy: 7
; WaveLimiterHint : 1
; COMPUTE_PGM_RSRC2:SCRATCH_EN: 0
; COMPUTE_PGM_RSRC2:USER_SGPR: 2
; COMPUTE_PGM_RSRC2:TRAP_HANDLER: 0
; COMPUTE_PGM_RSRC2:TGID_X_EN: 1
; COMPUTE_PGM_RSRC2:TGID_Y_EN: 0
; COMPUTE_PGM_RSRC2:TGID_Z_EN: 0
; COMPUTE_PGM_RSRC2:TIDIG_COMP_CNT: 0
; COMPUTE_PGM_RSRC3_GFX90A:ACCUM_OFFSET: 16
; COMPUTE_PGM_RSRC3_GFX90A:TG_SPLIT: 0
	.section	.text._Z16warp_load_kernelILj256ELj64ELj32ELN6hipcub17WarpLoadAlgorithmE2EiEvPT3_S3_,"axG",@progbits,_Z16warp_load_kernelILj256ELj64ELj32ELN6hipcub17WarpLoadAlgorithmE2EiEvPT3_S3_,comdat
	.protected	_Z16warp_load_kernelILj256ELj64ELj32ELN6hipcub17WarpLoadAlgorithmE2EiEvPT3_S3_ ; -- Begin function _Z16warp_load_kernelILj256ELj64ELj32ELN6hipcub17WarpLoadAlgorithmE2EiEvPT3_S3_
	.globl	_Z16warp_load_kernelILj256ELj64ELj32ELN6hipcub17WarpLoadAlgorithmE2EiEvPT3_S3_
	.p2align	8
	.type	_Z16warp_load_kernelILj256ELj64ELj32ELN6hipcub17WarpLoadAlgorithmE2EiEvPT3_S3_,@function
_Z16warp_load_kernelILj256ELj64ELj32ELN6hipcub17WarpLoadAlgorithmE2EiEvPT3_S3_: ; @_Z16warp_load_kernelILj256ELj64ELj32ELN6hipcub17WarpLoadAlgorithmE2EiEvPT3_S3_
; %bb.0:
	s_load_dwordx4 s[4:7], s[0:1], 0x0
	v_mbcnt_lo_u32_b32 v1, -1, 0
	v_lshlrev_b32_e32 v4, 6, v0
	v_mbcnt_hi_u32_b32 v1, -1, v1
	s_lshl_b32 s0, s2, 14
	v_and_b32_e32 v4, 0x3800, v4
	s_waitcnt lgkmcnt(0)
	v_mov_b32_e32 v2, s4
	v_mov_b32_e32 v3, s5
	v_or_b32_e32 v28, s0, v4
	v_mov_b32_e32 v29, 0
	v_lshlrev_b32_e32 v1, 8, v1
	v_lshl_add_u64 v[2:3], v[28:29], 2, v[2:3]
	v_and_b32_e32 v28, 0x1f00, v1
	v_lshl_add_u64 v[66:67], v[2:3], 0, v[28:29]
	global_load_dwordx4 v[30:33], v[66:67], off
	global_load_dwordx4 v[34:37], v[66:67], off offset:16
	global_load_dwordx4 v[38:41], v[66:67], off offset:32
	;; [unrolled: 1-line block ×4, first 2 shown]
	v_or_b32_e32 v28, s0, v0
	global_load_dwordx4 v[50:53], v[66:67], off offset:80
	global_load_dwordx4 v[54:57], v[66:67], off offset:112
	;; [unrolled: 1-line block ×11, first 2 shown]
	v_lshl_add_u64 v[66:67], v[28:29], 2, s[6:7]
	s_waitcnt vmcnt(15)
	global_store_dword v[66:67], v30, off
	global_store_dword v[66:67], v31, off offset:1024
	global_store_dword v[66:67], v32, off offset:2048
	;; [unrolled: 1-line block ×3, first 2 shown]
	v_mov_b32_e32 v31, v29
	v_or_b32_e32 v30, 0x400, v28
	v_lshl_add_u64 v[30:31], v[30:31], 2, s[6:7]
	v_mov_b32_e32 v33, v29
	s_waitcnt vmcnt(18)
	global_store_dword v[30:31], v34, off
	v_mov_b32_e32 v31, v29
	v_or_b32_e32 v32, 0x500, v28
	v_or_b32_e32 v30, 0x700, v28
	v_mov_b32_e32 v67, v29
	v_lshl_add_u64 v[32:33], v[32:33], 2, s[6:7]
	v_or_b32_e32 v66, 0x600, v28
	v_lshl_add_u64 v[30:31], v[30:31], 2, s[6:7]
	global_store_dword v[32:33], v35, off
	v_lshl_add_u64 v[34:35], v[66:67], 2, s[6:7]
	global_store_dword v[30:31], v37, off
	v_mov_b32_e32 v31, v29
	v_or_b32_e32 v30, 0xa00, v28
	v_mov_b32_e32 v33, v29
	global_store_dword v[34:35], v36, off
	v_mov_b32_e32 v35, v29
	v_mov_b32_e32 v37, v29
	v_or_b32_e32 v32, 0x800, v28
	v_or_b32_e32 v34, 0x900, v28
	v_lshl_add_u64 v[30:31], v[30:31], 2, s[6:7]
	v_or_b32_e32 v36, 0xb00, v28
	v_lshl_add_u64 v[32:33], v[32:33], 2, s[6:7]
	v_lshl_add_u64 v[34:35], v[34:35], 2, s[6:7]
	s_waitcnt vmcnt(21)
	global_store_dword v[30:31], v40, off
	v_mov_b32_e32 v31, v29
	v_lshl_add_u64 v[36:37], v[36:37], 2, s[6:7]
	v_or_b32_e32 v66, 0xc00, v28
	v_or_b32_e32 v30, 0xf00, v28
	global_store_dword v[32:33], v38, off
	v_mov_b32_e32 v33, v29
	global_store_dword v[34:35], v39, off
	v_mov_b32_e32 v35, v29
	;; [unrolled: 2-line block ×3, first 2 shown]
	v_or_b32_e32 v32, 0xd00, v28
	v_or_b32_e32 v34, 0xe00, v28
	;; [unrolled: 1-line block ×3, first 2 shown]
	v_lshl_add_u64 v[38:39], v[66:67], 2, s[6:7]
	v_lshl_add_u64 v[30:31], v[30:31], 2, s[6:7]
	;; [unrolled: 1-line block ×5, first 2 shown]
	s_waitcnt vmcnt(24)
	global_store_dword v[38:39], v42, off
	global_store_dword v[32:33], v43, off
	;; [unrolled: 1-line block ×4, first 2 shown]
	s_waitcnt vmcnt(27)
	global_store_dword v[36:37], v46, off
	v_or_b32_e32 v30, 0x1100, v28
	v_mov_b32_e32 v31, v29
	v_lshl_add_u64 v[30:31], v[30:31], 2, s[6:7]
	global_store_dword v[30:31], v47, off
	v_or_b32_e32 v30, 0x1200, v28
	v_mov_b32_e32 v31, v29
	v_lshl_add_u64 v[30:31], v[30:31], 2, s[6:7]
	global_store_dword v[30:31], v48, off
	v_or_b32_e32 v30, 0x1300, v28
	v_mov_b32_e32 v31, v29
	v_lshl_add_u64 v[30:31], v[30:31], 2, s[6:7]
	global_store_dword v[30:31], v49, off
	v_or_b32_e32 v30, 0x1400, v28
	v_mov_b32_e32 v31, v29
	v_lshl_add_u64 v[30:31], v[30:31], 2, s[6:7]
	s_waitcnt vmcnt(30)
	global_store_dword v[30:31], v50, off
	v_or_b32_e32 v30, 0x1500, v28
	v_mov_b32_e32 v31, v29
	v_lshl_add_u64 v[30:31], v[30:31], 2, s[6:7]
	global_store_dword v[30:31], v51, off
	v_or_b32_e32 v30, 0x1600, v28
	v_mov_b32_e32 v31, v29
	v_lshl_add_u64 v[30:31], v[30:31], 2, s[6:7]
	global_store_dword v[30:31], v52, off
	v_or_b32_e32 v30, 0x1700, v28
	v_mov_b32_e32 v31, v29
	v_lshl_add_u64 v[30:31], v[30:31], 2, s[6:7]
	global_store_dword v[30:31], v53, off
	v_or_b32_e32 v30, 0x1800, v28
	v_mov_b32_e32 v31, v29
	v_lshl_add_u64 v[30:31], v[30:31], 2, s[6:7]
	;; [unrolled: 17-line block ×3, first 2 shown]
	global_store_dword v[30:31], v54, off
	v_or_b32_e32 v30, 0x1d00, v28
	v_mov_b32_e32 v31, v29
	v_lshl_add_u64 v[30:31], v[30:31], 2, s[6:7]
	global_store_dword v[30:31], v55, off
	v_or_b32_e32 v30, 0x1e00, v28
	v_mov_b32_e32 v31, v29
	v_lshl_add_u64 v[30:31], v[30:31], 2, s[6:7]
	global_store_dword v[30:31], v56, off
	v_or_b32_e32 v30, 0x1f00, v28
	v_mov_b32_e32 v31, v29
	v_lshl_add_u64 v[30:31], v[30:31], 2, s[6:7]
	global_store_dword v[30:31], v57, off
	v_or_b32_e32 v30, 0x2000, v28
	v_mov_b32_e32 v31, v29
	v_lshl_add_u64 v[30:31], v[30:31], 2, s[6:7]
	s_waitcnt vmcnt(36)
	global_store_dword v[30:31], v62, off
	v_or_b32_e32 v30, 0x2100, v28
	v_mov_b32_e32 v31, v29
	v_lshl_add_u64 v[30:31], v[30:31], 2, s[6:7]
	global_store_dword v[30:31], v63, off
	v_or_b32_e32 v30, 0x2200, v28
	v_mov_b32_e32 v31, v29
	v_lshl_add_u64 v[30:31], v[30:31], 2, s[6:7]
	;; [unrolled: 4-line block ×16, first 2 shown]
	s_waitcnt vmcnt(48)
	global_store_dword v[16:17], v12, off
	v_or_b32_e32 v16, 0x3100, v28
	v_mov_b32_e32 v17, v29
	v_lshl_add_u64 v[16:17], v[16:17], 2, s[6:7]
	global_store_dword v[16:17], v13, off
	v_or_b32_e32 v12, 0x3200, v28
	v_mov_b32_e32 v13, v29
	v_lshl_add_u64 v[12:13], v[12:13], 2, s[6:7]
	global_store_dword v[12:13], v14, off
	v_or_b32_e32 v12, 0x3300, v28
	v_mov_b32_e32 v13, v29
	v_lshl_add_u64 v[12:13], v[12:13], 2, s[6:7]
	global_store_dword v[12:13], v15, off
	v_or_b32_e32 v12, 0x3400, v28
	v_mov_b32_e32 v13, v29
	v_lshl_add_u64 v[12:13], v[12:13], 2, s[6:7]
	global_store_dword v[12:13], v8, off
	v_or_b32_e32 v12, 0x3500, v28
	v_mov_b32_e32 v13, v29
	v_lshl_add_u64 v[12:13], v[12:13], 2, s[6:7]
	global_store_dword v[12:13], v9, off
	v_or_b32_e32 v8, 0x3600, v28
	v_mov_b32_e32 v9, v29
	v_lshl_add_u64 v[8:9], v[8:9], 2, s[6:7]
	global_store_dword v[8:9], v10, off
	v_or_b32_e32 v8, 0x3700, v28
	v_mov_b32_e32 v9, v29
	v_lshl_add_u64 v[8:9], v[8:9], 2, s[6:7]
	global_store_dword v[8:9], v11, off
	v_or_b32_e32 v8, 0x3800, v28
	v_mov_b32_e32 v9, v29
	v_lshl_add_u64 v[8:9], v[8:9], 2, s[6:7]
	global_store_dword v[8:9], v4, off
	v_or_b32_e32 v8, 0x3900, v28
	v_mov_b32_e32 v9, v29
	v_lshl_add_u64 v[8:9], v[8:9], 2, s[6:7]
	global_store_dword v[8:9], v5, off
	v_or_b32_e32 v4, 0x3a00, v28
	v_mov_b32_e32 v5, v29
	v_lshl_add_u64 v[4:5], v[4:5], 2, s[6:7]
	global_store_dword v[4:5], v6, off
	v_or_b32_e32 v4, 0x3b00, v28
	v_mov_b32_e32 v5, v29
	v_lshl_add_u64 v[4:5], v[4:5], 2, s[6:7]
	global_store_dword v[4:5], v7, off
	v_or_b32_e32 v4, 0x3c00, v28
	v_mov_b32_e32 v5, v29
	v_lshl_add_u64 v[4:5], v[4:5], 2, s[6:7]
	global_store_dword v[4:5], v0, off
	v_or_b32_e32 v4, 0x3d00, v28
	v_mov_b32_e32 v5, v29
	v_lshl_add_u64 v[4:5], v[4:5], 2, s[6:7]
	global_store_dword v[4:5], v1, off
	v_or_b32_e32 v0, 0x3e00, v28
	v_mov_b32_e32 v1, v29
	v_lshl_add_u64 v[0:1], v[0:1], 2, s[6:7]
	v_or_b32_e32 v28, 0x3f00, v28
	global_store_dword v[0:1], v2, off
	v_lshl_add_u64 v[0:1], v[28:29], 2, s[6:7]
	global_store_dword v[0:1], v3, off
	s_endpgm
	.section	.rodata,"a",@progbits
	.p2align	6, 0x0
	.amdhsa_kernel _Z16warp_load_kernelILj256ELj64ELj32ELN6hipcub17WarpLoadAlgorithmE2EiEvPT3_S3_
		.amdhsa_group_segment_fixed_size 0
		.amdhsa_private_segment_fixed_size 0
		.amdhsa_kernarg_size 16
		.amdhsa_user_sgpr_count 2
		.amdhsa_user_sgpr_dispatch_ptr 0
		.amdhsa_user_sgpr_queue_ptr 0
		.amdhsa_user_sgpr_kernarg_segment_ptr 1
		.amdhsa_user_sgpr_dispatch_id 0
		.amdhsa_user_sgpr_kernarg_preload_length 0
		.amdhsa_user_sgpr_kernarg_preload_offset 0
		.amdhsa_user_sgpr_private_segment_size 0
		.amdhsa_uses_dynamic_stack 0
		.amdhsa_enable_private_segment 0
		.amdhsa_system_sgpr_workgroup_id_x 1
		.amdhsa_system_sgpr_workgroup_id_y 0
		.amdhsa_system_sgpr_workgroup_id_z 0
		.amdhsa_system_sgpr_workgroup_info 0
		.amdhsa_system_vgpr_workitem_id 0
		.amdhsa_next_free_vgpr 68
		.amdhsa_next_free_sgpr 8
		.amdhsa_accum_offset 68
		.amdhsa_reserve_vcc 0
		.amdhsa_float_round_mode_32 0
		.amdhsa_float_round_mode_16_64 0
		.amdhsa_float_denorm_mode_32 3
		.amdhsa_float_denorm_mode_16_64 3
		.amdhsa_dx10_clamp 1
		.amdhsa_ieee_mode 1
		.amdhsa_fp16_overflow 0
		.amdhsa_tg_split 0
		.amdhsa_exception_fp_ieee_invalid_op 0
		.amdhsa_exception_fp_denorm_src 0
		.amdhsa_exception_fp_ieee_div_zero 0
		.amdhsa_exception_fp_ieee_overflow 0
		.amdhsa_exception_fp_ieee_underflow 0
		.amdhsa_exception_fp_ieee_inexact 0
		.amdhsa_exception_int_div_zero 0
	.end_amdhsa_kernel
	.section	.text._Z16warp_load_kernelILj256ELj64ELj32ELN6hipcub17WarpLoadAlgorithmE2EiEvPT3_S3_,"axG",@progbits,_Z16warp_load_kernelILj256ELj64ELj32ELN6hipcub17WarpLoadAlgorithmE2EiEvPT3_S3_,comdat
.Lfunc_end18:
	.size	_Z16warp_load_kernelILj256ELj64ELj32ELN6hipcub17WarpLoadAlgorithmE2EiEvPT3_S3_, .Lfunc_end18-_Z16warp_load_kernelILj256ELj64ELj32ELN6hipcub17WarpLoadAlgorithmE2EiEvPT3_S3_
                                        ; -- End function
	.section	.AMDGPU.csdata,"",@progbits
; Kernel info:
; codeLenInByte = 1972
; NumSgprs: 14
; NumVgprs: 68
; NumAgprs: 0
; TotalNumVgprs: 68
; ScratchSize: 0
; MemoryBound: 0
; FloatMode: 240
; IeeeMode: 1
; LDSByteSize: 0 bytes/workgroup (compile time only)
; SGPRBlocks: 1
; VGPRBlocks: 8
; NumSGPRsForWavesPerEU: 14
; NumVGPRsForWavesPerEU: 68
; AccumOffset: 68
; Occupancy: 7
; WaveLimiterHint : 1
; COMPUTE_PGM_RSRC2:SCRATCH_EN: 0
; COMPUTE_PGM_RSRC2:USER_SGPR: 2
; COMPUTE_PGM_RSRC2:TRAP_HANDLER: 0
; COMPUTE_PGM_RSRC2:TGID_X_EN: 1
; COMPUTE_PGM_RSRC2:TGID_Y_EN: 0
; COMPUTE_PGM_RSRC2:TGID_Z_EN: 0
; COMPUTE_PGM_RSRC2:TIDIG_COMP_CNT: 0
; COMPUTE_PGM_RSRC3_GFX90A:ACCUM_OFFSET: 16
; COMPUTE_PGM_RSRC3_GFX90A:TG_SPLIT: 0
	.section	.text._Z16warp_load_kernelILj256ELj4ELj32ELN6hipcub17WarpLoadAlgorithmE0EdEvPT3_S3_,"axG",@progbits,_Z16warp_load_kernelILj256ELj4ELj32ELN6hipcub17WarpLoadAlgorithmE0EdEvPT3_S3_,comdat
	.protected	_Z16warp_load_kernelILj256ELj4ELj32ELN6hipcub17WarpLoadAlgorithmE0EdEvPT3_S3_ ; -- Begin function _Z16warp_load_kernelILj256ELj4ELj32ELN6hipcub17WarpLoadAlgorithmE0EdEvPT3_S3_
	.globl	_Z16warp_load_kernelILj256ELj4ELj32ELN6hipcub17WarpLoadAlgorithmE0EdEvPT3_S3_
	.p2align	8
	.type	_Z16warp_load_kernelILj256ELj4ELj32ELN6hipcub17WarpLoadAlgorithmE0EdEvPT3_S3_,@function
_Z16warp_load_kernelILj256ELj4ELj32ELN6hipcub17WarpLoadAlgorithmE0EdEvPT3_S3_: ; @_Z16warp_load_kernelILj256ELj4ELj32ELN6hipcub17WarpLoadAlgorithmE0EdEvPT3_S3_
; %bb.0:
	s_load_dwordx4 s[4:7], s[0:1], 0x0
	v_mbcnt_lo_u32_b32 v1, -1, 0
	v_lshlrev_b32_e32 v4, 2, v0
	v_mbcnt_hi_u32_b32 v1, -1, v1
	s_lshl_b32 s0, s2, 10
	v_and_b32_e32 v4, 0x380, v4
	s_waitcnt lgkmcnt(0)
	v_mov_b32_e32 v2, s4
	v_mov_b32_e32 v3, s5
	v_or_b32_e32 v10, s0, v4
	v_mov_b32_e32 v11, 0
	v_lshlrev_b32_e32 v1, 5, v1
	v_lshl_add_u64 v[2:3], v[10:11], 3, v[2:3]
	v_and_b32_e32 v10, 0x3e0, v1
	v_lshl_add_u64 v[12:13], v[2:3], 0, v[10:11]
	global_load_dwordx4 v[2:5], v[12:13], off
	global_load_dwordx4 v[6:9], v[12:13], off offset:16
	v_or_b32_e32 v10, s0, v0
	v_mov_b32_e32 v1, v11
	v_mov_b32_e32 v13, v11
	v_lshl_add_u64 v[14:15], v[10:11], 3, s[6:7]
	v_or_b32_e32 v0, 0x100, v10
	v_or_b32_e32 v12, 0x200, v10
	;; [unrolled: 1-line block ×3, first 2 shown]
	v_lshl_add_u64 v[0:1], v[0:1], 3, s[6:7]
	v_lshl_add_u64 v[12:13], v[12:13], 3, s[6:7]
	;; [unrolled: 1-line block ×3, first 2 shown]
	s_waitcnt vmcnt(1)
	global_store_dwordx2 v[14:15], v[2:3], off
	global_store_dwordx2 v[0:1], v[4:5], off
	s_waitcnt vmcnt(2)
	global_store_dwordx2 v[12:13], v[6:7], off
	global_store_dwordx2 v[10:11], v[8:9], off
	s_endpgm
	.section	.rodata,"a",@progbits
	.p2align	6, 0x0
	.amdhsa_kernel _Z16warp_load_kernelILj256ELj4ELj32ELN6hipcub17WarpLoadAlgorithmE0EdEvPT3_S3_
		.amdhsa_group_segment_fixed_size 0
		.amdhsa_private_segment_fixed_size 0
		.amdhsa_kernarg_size 16
		.amdhsa_user_sgpr_count 2
		.amdhsa_user_sgpr_dispatch_ptr 0
		.amdhsa_user_sgpr_queue_ptr 0
		.amdhsa_user_sgpr_kernarg_segment_ptr 1
		.amdhsa_user_sgpr_dispatch_id 0
		.amdhsa_user_sgpr_kernarg_preload_length 0
		.amdhsa_user_sgpr_kernarg_preload_offset 0
		.amdhsa_user_sgpr_private_segment_size 0
		.amdhsa_uses_dynamic_stack 0
		.amdhsa_enable_private_segment 0
		.amdhsa_system_sgpr_workgroup_id_x 1
		.amdhsa_system_sgpr_workgroup_id_y 0
		.amdhsa_system_sgpr_workgroup_id_z 0
		.amdhsa_system_sgpr_workgroup_info 0
		.amdhsa_system_vgpr_workitem_id 0
		.amdhsa_next_free_vgpr 16
		.amdhsa_next_free_sgpr 8
		.amdhsa_accum_offset 16
		.amdhsa_reserve_vcc 0
		.amdhsa_float_round_mode_32 0
		.amdhsa_float_round_mode_16_64 0
		.amdhsa_float_denorm_mode_32 3
		.amdhsa_float_denorm_mode_16_64 3
		.amdhsa_dx10_clamp 1
		.amdhsa_ieee_mode 1
		.amdhsa_fp16_overflow 0
		.amdhsa_tg_split 0
		.amdhsa_exception_fp_ieee_invalid_op 0
		.amdhsa_exception_fp_denorm_src 0
		.amdhsa_exception_fp_ieee_div_zero 0
		.amdhsa_exception_fp_ieee_overflow 0
		.amdhsa_exception_fp_ieee_underflow 0
		.amdhsa_exception_fp_ieee_inexact 0
		.amdhsa_exception_int_div_zero 0
	.end_amdhsa_kernel
	.section	.text._Z16warp_load_kernelILj256ELj4ELj32ELN6hipcub17WarpLoadAlgorithmE0EdEvPT3_S3_,"axG",@progbits,_Z16warp_load_kernelILj256ELj4ELj32ELN6hipcub17WarpLoadAlgorithmE0EdEvPT3_S3_,comdat
.Lfunc_end19:
	.size	_Z16warp_load_kernelILj256ELj4ELj32ELN6hipcub17WarpLoadAlgorithmE0EdEvPT3_S3_, .Lfunc_end19-_Z16warp_load_kernelILj256ELj4ELj32ELN6hipcub17WarpLoadAlgorithmE0EdEvPT3_S3_
                                        ; -- End function
	.section	.AMDGPU.csdata,"",@progbits
; Kernel info:
; codeLenInByte = 216
; NumSgprs: 14
; NumVgprs: 16
; NumAgprs: 0
; TotalNumVgprs: 16
; ScratchSize: 0
; MemoryBound: 0
; FloatMode: 240
; IeeeMode: 1
; LDSByteSize: 0 bytes/workgroup (compile time only)
; SGPRBlocks: 1
; VGPRBlocks: 1
; NumSGPRsForWavesPerEU: 14
; NumVGPRsForWavesPerEU: 16
; AccumOffset: 16
; Occupancy: 8
; WaveLimiterHint : 0
; COMPUTE_PGM_RSRC2:SCRATCH_EN: 0
; COMPUTE_PGM_RSRC2:USER_SGPR: 2
; COMPUTE_PGM_RSRC2:TRAP_HANDLER: 0
; COMPUTE_PGM_RSRC2:TGID_X_EN: 1
; COMPUTE_PGM_RSRC2:TGID_Y_EN: 0
; COMPUTE_PGM_RSRC2:TGID_Z_EN: 0
; COMPUTE_PGM_RSRC2:TIDIG_COMP_CNT: 0
; COMPUTE_PGM_RSRC3_GFX90A:ACCUM_OFFSET: 3
; COMPUTE_PGM_RSRC3_GFX90A:TG_SPLIT: 0
	.section	.text._Z16warp_load_kernelILj256ELj4ELj32ELN6hipcub17WarpLoadAlgorithmE1EdEvPT3_S3_,"axG",@progbits,_Z16warp_load_kernelILj256ELj4ELj32ELN6hipcub17WarpLoadAlgorithmE1EdEvPT3_S3_,comdat
	.protected	_Z16warp_load_kernelILj256ELj4ELj32ELN6hipcub17WarpLoadAlgorithmE1EdEvPT3_S3_ ; -- Begin function _Z16warp_load_kernelILj256ELj4ELj32ELN6hipcub17WarpLoadAlgorithmE1EdEvPT3_S3_
	.globl	_Z16warp_load_kernelILj256ELj4ELj32ELN6hipcub17WarpLoadAlgorithmE1EdEvPT3_S3_
	.p2align	8
	.type	_Z16warp_load_kernelILj256ELj4ELj32ELN6hipcub17WarpLoadAlgorithmE1EdEvPT3_S3_,@function
_Z16warp_load_kernelILj256ELj4ELj32ELN6hipcub17WarpLoadAlgorithmE1EdEvPT3_S3_: ; @_Z16warp_load_kernelILj256ELj4ELj32ELN6hipcub17WarpLoadAlgorithmE1EdEvPT3_S3_
; %bb.0:
	s_load_dwordx4 s[4:7], s[0:1], 0x0
	v_mbcnt_lo_u32_b32 v1, -1, 0
	v_lshlrev_b32_e32 v4, 2, v0
	v_mbcnt_hi_u32_b32 v1, -1, v1
	s_lshl_b32 s0, s2, 10
	v_and_b32_e32 v4, 0x380, v4
	s_waitcnt lgkmcnt(0)
	v_mov_b32_e32 v2, s4
	v_mov_b32_e32 v3, s5
	v_and_b32_e32 v1, 31, v1
	v_or_b32_e32 v4, s0, v4
	v_mov_b32_e32 v5, 0
	v_lshl_add_u64 v[2:3], v[4:5], 3, v[2:3]
	v_lshlrev_b32_e32 v4, 3, v1
	v_lshl_add_u64 v[2:3], v[2:3], 0, v[4:5]
	global_load_dwordx2 v[6:7], v[2:3], off
	global_load_dwordx2 v[8:9], v[2:3], off offset:256
	global_load_dwordx2 v[10:11], v[2:3], off offset:512
	global_load_dwordx2 v[12:13], v[2:3], off offset:768
	v_or_b32_e32 v4, s0, v0
	v_mov_b32_e32 v1, v5
	v_mov_b32_e32 v3, v5
	v_lshl_add_u64 v[14:15], v[4:5], 3, s[6:7]
	v_or_b32_e32 v0, 0x100, v4
	v_or_b32_e32 v2, 0x200, v4
	;; [unrolled: 1-line block ×3, first 2 shown]
	v_lshl_add_u64 v[0:1], v[0:1], 3, s[6:7]
	v_lshl_add_u64 v[2:3], v[2:3], 3, s[6:7]
	;; [unrolled: 1-line block ×3, first 2 shown]
	s_waitcnt vmcnt(3)
	global_store_dwordx2 v[14:15], v[6:7], off
	s_waitcnt vmcnt(3)
	global_store_dwordx2 v[0:1], v[8:9], off
	s_waitcnt vmcnt(3)
	global_store_dwordx2 v[2:3], v[10:11], off
	s_waitcnt vmcnt(3)
	global_store_dwordx2 v[4:5], v[12:13], off
	s_endpgm
	.section	.rodata,"a",@progbits
	.p2align	6, 0x0
	.amdhsa_kernel _Z16warp_load_kernelILj256ELj4ELj32ELN6hipcub17WarpLoadAlgorithmE1EdEvPT3_S3_
		.amdhsa_group_segment_fixed_size 0
		.amdhsa_private_segment_fixed_size 0
		.amdhsa_kernarg_size 16
		.amdhsa_user_sgpr_count 2
		.amdhsa_user_sgpr_dispatch_ptr 0
		.amdhsa_user_sgpr_queue_ptr 0
		.amdhsa_user_sgpr_kernarg_segment_ptr 1
		.amdhsa_user_sgpr_dispatch_id 0
		.amdhsa_user_sgpr_kernarg_preload_length 0
		.amdhsa_user_sgpr_kernarg_preload_offset 0
		.amdhsa_user_sgpr_private_segment_size 0
		.amdhsa_uses_dynamic_stack 0
		.amdhsa_enable_private_segment 0
		.amdhsa_system_sgpr_workgroup_id_x 1
		.amdhsa_system_sgpr_workgroup_id_y 0
		.amdhsa_system_sgpr_workgroup_id_z 0
		.amdhsa_system_sgpr_workgroup_info 0
		.amdhsa_system_vgpr_workitem_id 0
		.amdhsa_next_free_vgpr 16
		.amdhsa_next_free_sgpr 8
		.amdhsa_accum_offset 16
		.amdhsa_reserve_vcc 0
		.amdhsa_float_round_mode_32 0
		.amdhsa_float_round_mode_16_64 0
		.amdhsa_float_denorm_mode_32 3
		.amdhsa_float_denorm_mode_16_64 3
		.amdhsa_dx10_clamp 1
		.amdhsa_ieee_mode 1
		.amdhsa_fp16_overflow 0
		.amdhsa_tg_split 0
		.amdhsa_exception_fp_ieee_invalid_op 0
		.amdhsa_exception_fp_denorm_src 0
		.amdhsa_exception_fp_ieee_div_zero 0
		.amdhsa_exception_fp_ieee_overflow 0
		.amdhsa_exception_fp_ieee_underflow 0
		.amdhsa_exception_fp_ieee_inexact 0
		.amdhsa_exception_int_div_zero 0
	.end_amdhsa_kernel
	.section	.text._Z16warp_load_kernelILj256ELj4ELj32ELN6hipcub17WarpLoadAlgorithmE1EdEvPT3_S3_,"axG",@progbits,_Z16warp_load_kernelILj256ELj4ELj32ELN6hipcub17WarpLoadAlgorithmE1EdEvPT3_S3_,comdat
.Lfunc_end20:
	.size	_Z16warp_load_kernelILj256ELj4ELj32ELN6hipcub17WarpLoadAlgorithmE1EdEvPT3_S3_, .Lfunc_end20-_Z16warp_load_kernelILj256ELj4ELj32ELN6hipcub17WarpLoadAlgorithmE1EdEvPT3_S3_
                                        ; -- End function
	.section	.AMDGPU.csdata,"",@progbits
; Kernel info:
; codeLenInByte = 236
; NumSgprs: 14
; NumVgprs: 16
; NumAgprs: 0
; TotalNumVgprs: 16
; ScratchSize: 0
; MemoryBound: 0
; FloatMode: 240
; IeeeMode: 1
; LDSByteSize: 0 bytes/workgroup (compile time only)
; SGPRBlocks: 1
; VGPRBlocks: 1
; NumSGPRsForWavesPerEU: 14
; NumVGPRsForWavesPerEU: 16
; AccumOffset: 16
; Occupancy: 8
; WaveLimiterHint : 1
; COMPUTE_PGM_RSRC2:SCRATCH_EN: 0
; COMPUTE_PGM_RSRC2:USER_SGPR: 2
; COMPUTE_PGM_RSRC2:TRAP_HANDLER: 0
; COMPUTE_PGM_RSRC2:TGID_X_EN: 1
; COMPUTE_PGM_RSRC2:TGID_Y_EN: 0
; COMPUTE_PGM_RSRC2:TGID_Z_EN: 0
; COMPUTE_PGM_RSRC2:TIDIG_COMP_CNT: 0
; COMPUTE_PGM_RSRC3_GFX90A:ACCUM_OFFSET: 3
; COMPUTE_PGM_RSRC3_GFX90A:TG_SPLIT: 0
	.section	.text._Z16warp_load_kernelILj256ELj4ELj32ELN6hipcub17WarpLoadAlgorithmE2EdEvPT3_S3_,"axG",@progbits,_Z16warp_load_kernelILj256ELj4ELj32ELN6hipcub17WarpLoadAlgorithmE2EdEvPT3_S3_,comdat
	.protected	_Z16warp_load_kernelILj256ELj4ELj32ELN6hipcub17WarpLoadAlgorithmE2EdEvPT3_S3_ ; -- Begin function _Z16warp_load_kernelILj256ELj4ELj32ELN6hipcub17WarpLoadAlgorithmE2EdEvPT3_S3_
	.globl	_Z16warp_load_kernelILj256ELj4ELj32ELN6hipcub17WarpLoadAlgorithmE2EdEvPT3_S3_
	.p2align	8
	.type	_Z16warp_load_kernelILj256ELj4ELj32ELN6hipcub17WarpLoadAlgorithmE2EdEvPT3_S3_,@function
_Z16warp_load_kernelILj256ELj4ELj32ELN6hipcub17WarpLoadAlgorithmE2EdEvPT3_S3_: ; @_Z16warp_load_kernelILj256ELj4ELj32ELN6hipcub17WarpLoadAlgorithmE2EdEvPT3_S3_
; %bb.0:
	s_load_dwordx4 s[4:7], s[0:1], 0x0
	v_mbcnt_lo_u32_b32 v1, -1, 0
	v_lshlrev_b32_e32 v4, 2, v0
	v_mbcnt_hi_u32_b32 v1, -1, v1
	s_lshl_b32 s0, s2, 10
	v_and_b32_e32 v4, 0x380, v4
	s_waitcnt lgkmcnt(0)
	v_mov_b32_e32 v2, s4
	v_mov_b32_e32 v3, s5
	v_or_b32_e32 v10, s0, v4
	v_mov_b32_e32 v11, 0
	v_lshlrev_b32_e32 v1, 5, v1
	v_lshl_add_u64 v[2:3], v[10:11], 3, v[2:3]
	v_and_b32_e32 v10, 0x3e0, v1
	v_lshl_add_u64 v[12:13], v[2:3], 0, v[10:11]
	global_load_dwordx4 v[2:5], v[12:13], off
	global_load_dwordx4 v[6:9], v[12:13], off offset:16
	v_or_b32_e32 v10, s0, v0
	v_mov_b32_e32 v1, v11
	v_mov_b32_e32 v13, v11
	v_lshl_add_u64 v[14:15], v[10:11], 3, s[6:7]
	v_or_b32_e32 v0, 0x100, v10
	v_or_b32_e32 v12, 0x200, v10
	v_or_b32_e32 v10, 0x300, v10
	v_lshl_add_u64 v[0:1], v[0:1], 3, s[6:7]
	v_lshl_add_u64 v[12:13], v[12:13], 3, s[6:7]
	;; [unrolled: 1-line block ×3, first 2 shown]
	s_waitcnt vmcnt(1)
	global_store_dwordx2 v[14:15], v[2:3], off
	global_store_dwordx2 v[0:1], v[4:5], off
	s_waitcnt vmcnt(2)
	global_store_dwordx2 v[12:13], v[6:7], off
	global_store_dwordx2 v[10:11], v[8:9], off
	s_endpgm
	.section	.rodata,"a",@progbits
	.p2align	6, 0x0
	.amdhsa_kernel _Z16warp_load_kernelILj256ELj4ELj32ELN6hipcub17WarpLoadAlgorithmE2EdEvPT3_S3_
		.amdhsa_group_segment_fixed_size 0
		.amdhsa_private_segment_fixed_size 0
		.amdhsa_kernarg_size 16
		.amdhsa_user_sgpr_count 2
		.amdhsa_user_sgpr_dispatch_ptr 0
		.amdhsa_user_sgpr_queue_ptr 0
		.amdhsa_user_sgpr_kernarg_segment_ptr 1
		.amdhsa_user_sgpr_dispatch_id 0
		.amdhsa_user_sgpr_kernarg_preload_length 0
		.amdhsa_user_sgpr_kernarg_preload_offset 0
		.amdhsa_user_sgpr_private_segment_size 0
		.amdhsa_uses_dynamic_stack 0
		.amdhsa_enable_private_segment 0
		.amdhsa_system_sgpr_workgroup_id_x 1
		.amdhsa_system_sgpr_workgroup_id_y 0
		.amdhsa_system_sgpr_workgroup_id_z 0
		.amdhsa_system_sgpr_workgroup_info 0
		.amdhsa_system_vgpr_workitem_id 0
		.amdhsa_next_free_vgpr 16
		.amdhsa_next_free_sgpr 8
		.amdhsa_accum_offset 16
		.amdhsa_reserve_vcc 0
		.amdhsa_float_round_mode_32 0
		.amdhsa_float_round_mode_16_64 0
		.amdhsa_float_denorm_mode_32 3
		.amdhsa_float_denorm_mode_16_64 3
		.amdhsa_dx10_clamp 1
		.amdhsa_ieee_mode 1
		.amdhsa_fp16_overflow 0
		.amdhsa_tg_split 0
		.amdhsa_exception_fp_ieee_invalid_op 0
		.amdhsa_exception_fp_denorm_src 0
		.amdhsa_exception_fp_ieee_div_zero 0
		.amdhsa_exception_fp_ieee_overflow 0
		.amdhsa_exception_fp_ieee_underflow 0
		.amdhsa_exception_fp_ieee_inexact 0
		.amdhsa_exception_int_div_zero 0
	.end_amdhsa_kernel
	.section	.text._Z16warp_load_kernelILj256ELj4ELj32ELN6hipcub17WarpLoadAlgorithmE2EdEvPT3_S3_,"axG",@progbits,_Z16warp_load_kernelILj256ELj4ELj32ELN6hipcub17WarpLoadAlgorithmE2EdEvPT3_S3_,comdat
.Lfunc_end21:
	.size	_Z16warp_load_kernelILj256ELj4ELj32ELN6hipcub17WarpLoadAlgorithmE2EdEvPT3_S3_, .Lfunc_end21-_Z16warp_load_kernelILj256ELj4ELj32ELN6hipcub17WarpLoadAlgorithmE2EdEvPT3_S3_
                                        ; -- End function
	.section	.AMDGPU.csdata,"",@progbits
; Kernel info:
; codeLenInByte = 216
; NumSgprs: 14
; NumVgprs: 16
; NumAgprs: 0
; TotalNumVgprs: 16
; ScratchSize: 0
; MemoryBound: 0
; FloatMode: 240
; IeeeMode: 1
; LDSByteSize: 0 bytes/workgroup (compile time only)
; SGPRBlocks: 1
; VGPRBlocks: 1
; NumSGPRsForWavesPerEU: 14
; NumVGPRsForWavesPerEU: 16
; AccumOffset: 16
; Occupancy: 8
; WaveLimiterHint : 0
; COMPUTE_PGM_RSRC2:SCRATCH_EN: 0
; COMPUTE_PGM_RSRC2:USER_SGPR: 2
; COMPUTE_PGM_RSRC2:TRAP_HANDLER: 0
; COMPUTE_PGM_RSRC2:TGID_X_EN: 1
; COMPUTE_PGM_RSRC2:TGID_Y_EN: 0
; COMPUTE_PGM_RSRC2:TGID_Z_EN: 0
; COMPUTE_PGM_RSRC2:TIDIG_COMP_CNT: 0
; COMPUTE_PGM_RSRC3_GFX90A:ACCUM_OFFSET: 3
; COMPUTE_PGM_RSRC3_GFX90A:TG_SPLIT: 0
	.section	.text._Z16warp_load_kernelILj256ELj4ELj32ELN6hipcub17WarpLoadAlgorithmE3EdEvPT3_S3_,"axG",@progbits,_Z16warp_load_kernelILj256ELj4ELj32ELN6hipcub17WarpLoadAlgorithmE3EdEvPT3_S3_,comdat
	.protected	_Z16warp_load_kernelILj256ELj4ELj32ELN6hipcub17WarpLoadAlgorithmE3EdEvPT3_S3_ ; -- Begin function _Z16warp_load_kernelILj256ELj4ELj32ELN6hipcub17WarpLoadAlgorithmE3EdEvPT3_S3_
	.globl	_Z16warp_load_kernelILj256ELj4ELj32ELN6hipcub17WarpLoadAlgorithmE3EdEvPT3_S3_
	.p2align	8
	.type	_Z16warp_load_kernelILj256ELj4ELj32ELN6hipcub17WarpLoadAlgorithmE3EdEvPT3_S3_,@function
_Z16warp_load_kernelILj256ELj4ELj32ELN6hipcub17WarpLoadAlgorithmE3EdEvPT3_S3_: ; @_Z16warp_load_kernelILj256ELj4ELj32ELN6hipcub17WarpLoadAlgorithmE3EdEvPT3_S3_
; %bb.0:
	s_load_dwordx4 s[4:7], s[0:1], 0x0
	v_mbcnt_lo_u32_b32 v4, -1, 0
	v_lshrrev_b32_e32 v1, 5, v0
	v_mbcnt_hi_u32_b32 v4, -1, v4
	s_lshl_b32 s0, s2, 10
	s_waitcnt lgkmcnt(0)
	v_mov_b32_e32 v2, s4
	v_mov_b32_e32 v3, s5
	v_and_b32_e32 v14, 31, v4
	v_lshl_or_b32 v8, v1, 7, s0
	v_mov_b32_e32 v9, 0
	v_lshl_add_u64 v[2:3], v[8:9], 3, v[2:3]
	v_lshlrev_b32_e32 v8, 3, v14
	v_lshl_add_u64 v[2:3], v[2:3], 0, v[8:9]
	global_load_dwordx2 v[4:5], v[2:3], off
	global_load_dwordx2 v[6:7], v[2:3], off offset:256
	global_load_dwordx2 v[10:11], v[2:3], off offset:512
	;; [unrolled: 1-line block ×3, first 2 shown]
	v_lshl_or_b32 v1, v1, 10, v8
	v_mad_u32_u24 v20, v14, 24, v1
	v_or_b32_e32 v8, s0, v0
	v_mov_b32_e32 v15, v9
	v_mov_b32_e32 v17, v9
	v_lshl_add_u64 v[18:19], v[8:9], 3, s[6:7]
	v_or_b32_e32 v14, 0x100, v8
	v_or_b32_e32 v16, 0x200, v8
	;; [unrolled: 1-line block ×3, first 2 shown]
	v_lshl_add_u64 v[8:9], v[8:9], 3, s[6:7]
	s_waitcnt vmcnt(2)
	ds_write2_b64 v1, v[4:5], v[6:7] offset1:32
	s_waitcnt vmcnt(0)
	ds_write2_b64 v1, v[10:11], v[12:13] offset0:64 offset1:96
	; wave barrier
	ds_read_b128 v[0:3], v20
	ds_read_b128 v[4:7], v20 offset:16
	v_lshl_add_u64 v[10:11], v[14:15], 3, s[6:7]
	v_lshl_add_u64 v[12:13], v[16:17], 3, s[6:7]
	s_waitcnt lgkmcnt(1)
	global_store_dwordx2 v[18:19], v[0:1], off
	global_store_dwordx2 v[10:11], v[2:3], off
	s_waitcnt lgkmcnt(0)
	global_store_dwordx2 v[12:13], v[4:5], off
	global_store_dwordx2 v[8:9], v[6:7], off
	s_endpgm
	.section	.rodata,"a",@progbits
	.p2align	6, 0x0
	.amdhsa_kernel _Z16warp_load_kernelILj256ELj4ELj32ELN6hipcub17WarpLoadAlgorithmE3EdEvPT3_S3_
		.amdhsa_group_segment_fixed_size 8192
		.amdhsa_private_segment_fixed_size 0
		.amdhsa_kernarg_size 16
		.amdhsa_user_sgpr_count 2
		.amdhsa_user_sgpr_dispatch_ptr 0
		.amdhsa_user_sgpr_queue_ptr 0
		.amdhsa_user_sgpr_kernarg_segment_ptr 1
		.amdhsa_user_sgpr_dispatch_id 0
		.amdhsa_user_sgpr_kernarg_preload_length 0
		.amdhsa_user_sgpr_kernarg_preload_offset 0
		.amdhsa_user_sgpr_private_segment_size 0
		.amdhsa_uses_dynamic_stack 0
		.amdhsa_enable_private_segment 0
		.amdhsa_system_sgpr_workgroup_id_x 1
		.amdhsa_system_sgpr_workgroup_id_y 0
		.amdhsa_system_sgpr_workgroup_id_z 0
		.amdhsa_system_sgpr_workgroup_info 0
		.amdhsa_system_vgpr_workitem_id 0
		.amdhsa_next_free_vgpr 21
		.amdhsa_next_free_sgpr 8
		.amdhsa_accum_offset 24
		.amdhsa_reserve_vcc 0
		.amdhsa_float_round_mode_32 0
		.amdhsa_float_round_mode_16_64 0
		.amdhsa_float_denorm_mode_32 3
		.amdhsa_float_denorm_mode_16_64 3
		.amdhsa_dx10_clamp 1
		.amdhsa_ieee_mode 1
		.amdhsa_fp16_overflow 0
		.amdhsa_tg_split 0
		.amdhsa_exception_fp_ieee_invalid_op 0
		.amdhsa_exception_fp_denorm_src 0
		.amdhsa_exception_fp_ieee_div_zero 0
		.amdhsa_exception_fp_ieee_overflow 0
		.amdhsa_exception_fp_ieee_underflow 0
		.amdhsa_exception_fp_ieee_inexact 0
		.amdhsa_exception_int_div_zero 0
	.end_amdhsa_kernel
	.section	.text._Z16warp_load_kernelILj256ELj4ELj32ELN6hipcub17WarpLoadAlgorithmE3EdEvPT3_S3_,"axG",@progbits,_Z16warp_load_kernelILj256ELj4ELj32ELN6hipcub17WarpLoadAlgorithmE3EdEvPT3_S3_,comdat
.Lfunc_end22:
	.size	_Z16warp_load_kernelILj256ELj4ELj32ELN6hipcub17WarpLoadAlgorithmE3EdEvPT3_S3_, .Lfunc_end22-_Z16warp_load_kernelILj256ELj4ELj32ELN6hipcub17WarpLoadAlgorithmE3EdEvPT3_S3_
                                        ; -- End function
	.section	.AMDGPU.csdata,"",@progbits
; Kernel info:
; codeLenInByte = 280
; NumSgprs: 14
; NumVgprs: 21
; NumAgprs: 0
; TotalNumVgprs: 21
; ScratchSize: 0
; MemoryBound: 1
; FloatMode: 240
; IeeeMode: 1
; LDSByteSize: 8192 bytes/workgroup (compile time only)
; SGPRBlocks: 1
; VGPRBlocks: 2
; NumSGPRsForWavesPerEU: 14
; NumVGPRsForWavesPerEU: 21
; AccumOffset: 24
; Occupancy: 8
; WaveLimiterHint : 1
; COMPUTE_PGM_RSRC2:SCRATCH_EN: 0
; COMPUTE_PGM_RSRC2:USER_SGPR: 2
; COMPUTE_PGM_RSRC2:TRAP_HANDLER: 0
; COMPUTE_PGM_RSRC2:TGID_X_EN: 1
; COMPUTE_PGM_RSRC2:TGID_Y_EN: 0
; COMPUTE_PGM_RSRC2:TGID_Z_EN: 0
; COMPUTE_PGM_RSRC2:TIDIG_COMP_CNT: 0
; COMPUTE_PGM_RSRC3_GFX90A:ACCUM_OFFSET: 5
; COMPUTE_PGM_RSRC3_GFX90A:TG_SPLIT: 0
	.section	.text._Z16warp_load_kernelILj256ELj8ELj32ELN6hipcub17WarpLoadAlgorithmE0EdEvPT3_S3_,"axG",@progbits,_Z16warp_load_kernelILj256ELj8ELj32ELN6hipcub17WarpLoadAlgorithmE0EdEvPT3_S3_,comdat
	.protected	_Z16warp_load_kernelILj256ELj8ELj32ELN6hipcub17WarpLoadAlgorithmE0EdEvPT3_S3_ ; -- Begin function _Z16warp_load_kernelILj256ELj8ELj32ELN6hipcub17WarpLoadAlgorithmE0EdEvPT3_S3_
	.globl	_Z16warp_load_kernelILj256ELj8ELj32ELN6hipcub17WarpLoadAlgorithmE0EdEvPT3_S3_
	.p2align	8
	.type	_Z16warp_load_kernelILj256ELj8ELj32ELN6hipcub17WarpLoadAlgorithmE0EdEvPT3_S3_,@function
_Z16warp_load_kernelILj256ELj8ELj32ELN6hipcub17WarpLoadAlgorithmE0EdEvPT3_S3_: ; @_Z16warp_load_kernelILj256ELj8ELj32ELN6hipcub17WarpLoadAlgorithmE0EdEvPT3_S3_
; %bb.0:
	s_load_dwordx4 s[4:7], s[0:1], 0x0
	v_mbcnt_lo_u32_b32 v1, -1, 0
	v_lshlrev_b32_e32 v4, 3, v0
	v_mbcnt_hi_u32_b32 v1, -1, v1
	s_lshl_b32 s0, s2, 11
	v_and_b32_e32 v4, 0x700, v4
	s_waitcnt lgkmcnt(0)
	v_mov_b32_e32 v2, s4
	v_mov_b32_e32 v3, s5
	v_or_b32_e32 v18, s0, v4
	v_mov_b32_e32 v19, 0
	v_lshlrev_b32_e32 v1, 6, v1
	v_lshl_add_u64 v[2:3], v[18:19], 3, v[2:3]
	v_and_b32_e32 v18, 0x7c0, v1
	v_lshl_add_u64 v[20:21], v[2:3], 0, v[18:19]
	global_load_dwordx4 v[2:5], v[20:21], off
	global_load_dwordx4 v[6:9], v[20:21], off offset:16
	global_load_dwordx4 v[10:13], v[20:21], off offset:32
	;; [unrolled: 1-line block ×3, first 2 shown]
	v_or_b32_e32 v18, s0, v0
	v_mov_b32_e32 v1, v19
	v_mov_b32_e32 v21, v19
	;; [unrolled: 1-line block ×5, first 2 shown]
	v_lshl_add_u64 v[28:29], v[18:19], 3, s[6:7]
	v_or_b32_e32 v0, 0x200, v18
	v_or_b32_e32 v20, 0x300, v18
	;; [unrolled: 1-line block ×6, first 2 shown]
	v_lshl_add_u64 v[0:1], v[0:1], 3, s[6:7]
	v_lshl_add_u64 v[20:21], v[20:21], 3, s[6:7]
	;; [unrolled: 1-line block ×6, first 2 shown]
	s_waitcnt vmcnt(3)
	global_store_dwordx2 v[28:29], v[2:3], off
	global_store_dwordx2 v[28:29], v[4:5], off offset:2048
	s_waitcnt vmcnt(4)
	global_store_dwordx2 v[0:1], v[6:7], off
	global_store_dwordx2 v[20:21], v[8:9], off
	s_waitcnt vmcnt(5)
	global_store_dwordx2 v[22:23], v[10:11], off
	global_store_dwordx2 v[24:25], v[12:13], off
	;; [unrolled: 3-line block ×3, first 2 shown]
	s_endpgm
	.section	.rodata,"a",@progbits
	.p2align	6, 0x0
	.amdhsa_kernel _Z16warp_load_kernelILj256ELj8ELj32ELN6hipcub17WarpLoadAlgorithmE0EdEvPT3_S3_
		.amdhsa_group_segment_fixed_size 0
		.amdhsa_private_segment_fixed_size 0
		.amdhsa_kernarg_size 16
		.amdhsa_user_sgpr_count 2
		.amdhsa_user_sgpr_dispatch_ptr 0
		.amdhsa_user_sgpr_queue_ptr 0
		.amdhsa_user_sgpr_kernarg_segment_ptr 1
		.amdhsa_user_sgpr_dispatch_id 0
		.amdhsa_user_sgpr_kernarg_preload_length 0
		.amdhsa_user_sgpr_kernarg_preload_offset 0
		.amdhsa_user_sgpr_private_segment_size 0
		.amdhsa_uses_dynamic_stack 0
		.amdhsa_enable_private_segment 0
		.amdhsa_system_sgpr_workgroup_id_x 1
		.amdhsa_system_sgpr_workgroup_id_y 0
		.amdhsa_system_sgpr_workgroup_id_z 0
		.amdhsa_system_sgpr_workgroup_info 0
		.amdhsa_system_vgpr_workitem_id 0
		.amdhsa_next_free_vgpr 30
		.amdhsa_next_free_sgpr 8
		.amdhsa_accum_offset 32
		.amdhsa_reserve_vcc 0
		.amdhsa_float_round_mode_32 0
		.amdhsa_float_round_mode_16_64 0
		.amdhsa_float_denorm_mode_32 3
		.amdhsa_float_denorm_mode_16_64 3
		.amdhsa_dx10_clamp 1
		.amdhsa_ieee_mode 1
		.amdhsa_fp16_overflow 0
		.amdhsa_tg_split 0
		.amdhsa_exception_fp_ieee_invalid_op 0
		.amdhsa_exception_fp_denorm_src 0
		.amdhsa_exception_fp_ieee_div_zero 0
		.amdhsa_exception_fp_ieee_overflow 0
		.amdhsa_exception_fp_ieee_underflow 0
		.amdhsa_exception_fp_ieee_inexact 0
		.amdhsa_exception_int_div_zero 0
	.end_amdhsa_kernel
	.section	.text._Z16warp_load_kernelILj256ELj8ELj32ELN6hipcub17WarpLoadAlgorithmE0EdEvPT3_S3_,"axG",@progbits,_Z16warp_load_kernelILj256ELj8ELj32ELN6hipcub17WarpLoadAlgorithmE0EdEvPT3_S3_,comdat
.Lfunc_end23:
	.size	_Z16warp_load_kernelILj256ELj8ELj32ELN6hipcub17WarpLoadAlgorithmE0EdEvPT3_S3_, .Lfunc_end23-_Z16warp_load_kernelILj256ELj8ELj32ELN6hipcub17WarpLoadAlgorithmE0EdEvPT3_S3_
                                        ; -- End function
	.section	.AMDGPU.csdata,"",@progbits
; Kernel info:
; codeLenInByte = 332
; NumSgprs: 14
; NumVgprs: 30
; NumAgprs: 0
; TotalNumVgprs: 30
; ScratchSize: 0
; MemoryBound: 0
; FloatMode: 240
; IeeeMode: 1
; LDSByteSize: 0 bytes/workgroup (compile time only)
; SGPRBlocks: 1
; VGPRBlocks: 3
; NumSGPRsForWavesPerEU: 14
; NumVGPRsForWavesPerEU: 30
; AccumOffset: 32
; Occupancy: 8
; WaveLimiterHint : 1
; COMPUTE_PGM_RSRC2:SCRATCH_EN: 0
; COMPUTE_PGM_RSRC2:USER_SGPR: 2
; COMPUTE_PGM_RSRC2:TRAP_HANDLER: 0
; COMPUTE_PGM_RSRC2:TGID_X_EN: 1
; COMPUTE_PGM_RSRC2:TGID_Y_EN: 0
; COMPUTE_PGM_RSRC2:TGID_Z_EN: 0
; COMPUTE_PGM_RSRC2:TIDIG_COMP_CNT: 0
; COMPUTE_PGM_RSRC3_GFX90A:ACCUM_OFFSET: 7
; COMPUTE_PGM_RSRC3_GFX90A:TG_SPLIT: 0
	.section	.text._Z16warp_load_kernelILj256ELj8ELj32ELN6hipcub17WarpLoadAlgorithmE1EdEvPT3_S3_,"axG",@progbits,_Z16warp_load_kernelILj256ELj8ELj32ELN6hipcub17WarpLoadAlgorithmE1EdEvPT3_S3_,comdat
	.protected	_Z16warp_load_kernelILj256ELj8ELj32ELN6hipcub17WarpLoadAlgorithmE1EdEvPT3_S3_ ; -- Begin function _Z16warp_load_kernelILj256ELj8ELj32ELN6hipcub17WarpLoadAlgorithmE1EdEvPT3_S3_
	.globl	_Z16warp_load_kernelILj256ELj8ELj32ELN6hipcub17WarpLoadAlgorithmE1EdEvPT3_S3_
	.p2align	8
	.type	_Z16warp_load_kernelILj256ELj8ELj32ELN6hipcub17WarpLoadAlgorithmE1EdEvPT3_S3_,@function
_Z16warp_load_kernelILj256ELj8ELj32ELN6hipcub17WarpLoadAlgorithmE1EdEvPT3_S3_: ; @_Z16warp_load_kernelILj256ELj8ELj32ELN6hipcub17WarpLoadAlgorithmE1EdEvPT3_S3_
; %bb.0:
	s_load_dwordx4 s[4:7], s[0:1], 0x0
	v_mbcnt_lo_u32_b32 v1, -1, 0
	v_lshlrev_b32_e32 v4, 3, v0
	v_mbcnt_hi_u32_b32 v1, -1, v1
	s_lshl_b32 s0, s2, 11
	v_and_b32_e32 v4, 0x700, v4
	s_waitcnt lgkmcnt(0)
	v_mov_b32_e32 v2, s4
	v_mov_b32_e32 v3, s5
	v_and_b32_e32 v1, 31, v1
	v_or_b32_e32 v4, s0, v4
	v_mov_b32_e32 v5, 0
	v_lshl_add_u64 v[2:3], v[4:5], 3, v[2:3]
	v_lshlrev_b32_e32 v4, 3, v1
	v_lshl_add_u64 v[2:3], v[2:3], 0, v[4:5]
	global_load_dwordx2 v[6:7], v[2:3], off
	global_load_dwordx2 v[8:9], v[2:3], off offset:256
	global_load_dwordx2 v[10:11], v[2:3], off offset:512
	;; [unrolled: 1-line block ×7, first 2 shown]
	v_or_b32_e32 v4, s0, v0
	v_mov_b32_e32 v1, v5
	v_mov_b32_e32 v3, v5
	;; [unrolled: 1-line block ×5, first 2 shown]
	v_lshl_add_u64 v[28:29], v[4:5], 3, s[6:7]
	v_or_b32_e32 v0, 0x200, v4
	v_or_b32_e32 v2, 0x300, v4
	;; [unrolled: 1-line block ×6, first 2 shown]
	v_lshl_add_u64 v[0:1], v[0:1], 3, s[6:7]
	v_lshl_add_u64 v[2:3], v[2:3], 3, s[6:7]
	v_lshl_add_u64 v[22:23], v[22:23], 3, s[6:7]
	v_lshl_add_u64 v[24:25], v[24:25], 3, s[6:7]
	v_lshl_add_u64 v[26:27], v[26:27], 3, s[6:7]
	v_lshl_add_u64 v[4:5], v[4:5], 3, s[6:7]
	s_waitcnt vmcnt(7)
	global_store_dwordx2 v[28:29], v[6:7], off
	s_waitcnt vmcnt(7)
	global_store_dwordx2 v[28:29], v[8:9], off offset:2048
	s_waitcnt vmcnt(7)
	global_store_dwordx2 v[0:1], v[10:11], off
	s_waitcnt vmcnt(7)
	global_store_dwordx2 v[2:3], v[12:13], off
	;; [unrolled: 2-line block ×6, first 2 shown]
	s_endpgm
	.section	.rodata,"a",@progbits
	.p2align	6, 0x0
	.amdhsa_kernel _Z16warp_load_kernelILj256ELj8ELj32ELN6hipcub17WarpLoadAlgorithmE1EdEvPT3_S3_
		.amdhsa_group_segment_fixed_size 0
		.amdhsa_private_segment_fixed_size 0
		.amdhsa_kernarg_size 16
		.amdhsa_user_sgpr_count 2
		.amdhsa_user_sgpr_dispatch_ptr 0
		.amdhsa_user_sgpr_queue_ptr 0
		.amdhsa_user_sgpr_kernarg_segment_ptr 1
		.amdhsa_user_sgpr_dispatch_id 0
		.amdhsa_user_sgpr_kernarg_preload_length 0
		.amdhsa_user_sgpr_kernarg_preload_offset 0
		.amdhsa_user_sgpr_private_segment_size 0
		.amdhsa_uses_dynamic_stack 0
		.amdhsa_enable_private_segment 0
		.amdhsa_system_sgpr_workgroup_id_x 1
		.amdhsa_system_sgpr_workgroup_id_y 0
		.amdhsa_system_sgpr_workgroup_id_z 0
		.amdhsa_system_sgpr_workgroup_info 0
		.amdhsa_system_vgpr_workitem_id 0
		.amdhsa_next_free_vgpr 30
		.amdhsa_next_free_sgpr 8
		.amdhsa_accum_offset 32
		.amdhsa_reserve_vcc 0
		.amdhsa_float_round_mode_32 0
		.amdhsa_float_round_mode_16_64 0
		.amdhsa_float_denorm_mode_32 3
		.amdhsa_float_denorm_mode_16_64 3
		.amdhsa_dx10_clamp 1
		.amdhsa_ieee_mode 1
		.amdhsa_fp16_overflow 0
		.amdhsa_tg_split 0
		.amdhsa_exception_fp_ieee_invalid_op 0
		.amdhsa_exception_fp_denorm_src 0
		.amdhsa_exception_fp_ieee_div_zero 0
		.amdhsa_exception_fp_ieee_overflow 0
		.amdhsa_exception_fp_ieee_underflow 0
		.amdhsa_exception_fp_ieee_inexact 0
		.amdhsa_exception_int_div_zero 0
	.end_amdhsa_kernel
	.section	.text._Z16warp_load_kernelILj256ELj8ELj32ELN6hipcub17WarpLoadAlgorithmE1EdEvPT3_S3_,"axG",@progbits,_Z16warp_load_kernelILj256ELj8ELj32ELN6hipcub17WarpLoadAlgorithmE1EdEvPT3_S3_,comdat
.Lfunc_end24:
	.size	_Z16warp_load_kernelILj256ELj8ELj32ELN6hipcub17WarpLoadAlgorithmE1EdEvPT3_S3_, .Lfunc_end24-_Z16warp_load_kernelILj256ELj8ELj32ELN6hipcub17WarpLoadAlgorithmE1EdEvPT3_S3_
                                        ; -- End function
	.section	.AMDGPU.csdata,"",@progbits
; Kernel info:
; codeLenInByte = 376
; NumSgprs: 14
; NumVgprs: 30
; NumAgprs: 0
; TotalNumVgprs: 30
; ScratchSize: 0
; MemoryBound: 1
; FloatMode: 240
; IeeeMode: 1
; LDSByteSize: 0 bytes/workgroup (compile time only)
; SGPRBlocks: 1
; VGPRBlocks: 3
; NumSGPRsForWavesPerEU: 14
; NumVGPRsForWavesPerEU: 30
; AccumOffset: 32
; Occupancy: 8
; WaveLimiterHint : 1
; COMPUTE_PGM_RSRC2:SCRATCH_EN: 0
; COMPUTE_PGM_RSRC2:USER_SGPR: 2
; COMPUTE_PGM_RSRC2:TRAP_HANDLER: 0
; COMPUTE_PGM_RSRC2:TGID_X_EN: 1
; COMPUTE_PGM_RSRC2:TGID_Y_EN: 0
; COMPUTE_PGM_RSRC2:TGID_Z_EN: 0
; COMPUTE_PGM_RSRC2:TIDIG_COMP_CNT: 0
; COMPUTE_PGM_RSRC3_GFX90A:ACCUM_OFFSET: 7
; COMPUTE_PGM_RSRC3_GFX90A:TG_SPLIT: 0
	.section	.text._Z16warp_load_kernelILj256ELj8ELj32ELN6hipcub17WarpLoadAlgorithmE2EdEvPT3_S3_,"axG",@progbits,_Z16warp_load_kernelILj256ELj8ELj32ELN6hipcub17WarpLoadAlgorithmE2EdEvPT3_S3_,comdat
	.protected	_Z16warp_load_kernelILj256ELj8ELj32ELN6hipcub17WarpLoadAlgorithmE2EdEvPT3_S3_ ; -- Begin function _Z16warp_load_kernelILj256ELj8ELj32ELN6hipcub17WarpLoadAlgorithmE2EdEvPT3_S3_
	.globl	_Z16warp_load_kernelILj256ELj8ELj32ELN6hipcub17WarpLoadAlgorithmE2EdEvPT3_S3_
	.p2align	8
	.type	_Z16warp_load_kernelILj256ELj8ELj32ELN6hipcub17WarpLoadAlgorithmE2EdEvPT3_S3_,@function
_Z16warp_load_kernelILj256ELj8ELj32ELN6hipcub17WarpLoadAlgorithmE2EdEvPT3_S3_: ; @_Z16warp_load_kernelILj256ELj8ELj32ELN6hipcub17WarpLoadAlgorithmE2EdEvPT3_S3_
; %bb.0:
	s_load_dwordx4 s[4:7], s[0:1], 0x0
	v_mbcnt_lo_u32_b32 v1, -1, 0
	v_lshlrev_b32_e32 v4, 3, v0
	v_mbcnt_hi_u32_b32 v1, -1, v1
	s_lshl_b32 s0, s2, 11
	v_and_b32_e32 v4, 0x700, v4
	s_waitcnt lgkmcnt(0)
	v_mov_b32_e32 v2, s4
	v_mov_b32_e32 v3, s5
	v_or_b32_e32 v18, s0, v4
	v_mov_b32_e32 v19, 0
	v_lshlrev_b32_e32 v1, 6, v1
	v_lshl_add_u64 v[2:3], v[18:19], 3, v[2:3]
	v_and_b32_e32 v18, 0x7c0, v1
	v_lshl_add_u64 v[20:21], v[2:3], 0, v[18:19]
	global_load_dwordx4 v[2:5], v[20:21], off
	global_load_dwordx4 v[6:9], v[20:21], off offset:16
	global_load_dwordx4 v[10:13], v[20:21], off offset:32
	;; [unrolled: 1-line block ×3, first 2 shown]
	v_or_b32_e32 v18, s0, v0
	v_mov_b32_e32 v1, v19
	v_mov_b32_e32 v21, v19
	;; [unrolled: 1-line block ×5, first 2 shown]
	v_lshl_add_u64 v[28:29], v[18:19], 3, s[6:7]
	v_or_b32_e32 v0, 0x200, v18
	v_or_b32_e32 v20, 0x300, v18
	;; [unrolled: 1-line block ×6, first 2 shown]
	v_lshl_add_u64 v[0:1], v[0:1], 3, s[6:7]
	v_lshl_add_u64 v[20:21], v[20:21], 3, s[6:7]
	;; [unrolled: 1-line block ×6, first 2 shown]
	s_waitcnt vmcnt(3)
	global_store_dwordx2 v[28:29], v[2:3], off
	global_store_dwordx2 v[28:29], v[4:5], off offset:2048
	s_waitcnt vmcnt(4)
	global_store_dwordx2 v[0:1], v[6:7], off
	global_store_dwordx2 v[20:21], v[8:9], off
	s_waitcnt vmcnt(5)
	global_store_dwordx2 v[22:23], v[10:11], off
	global_store_dwordx2 v[24:25], v[12:13], off
	;; [unrolled: 3-line block ×3, first 2 shown]
	s_endpgm
	.section	.rodata,"a",@progbits
	.p2align	6, 0x0
	.amdhsa_kernel _Z16warp_load_kernelILj256ELj8ELj32ELN6hipcub17WarpLoadAlgorithmE2EdEvPT3_S3_
		.amdhsa_group_segment_fixed_size 0
		.amdhsa_private_segment_fixed_size 0
		.amdhsa_kernarg_size 16
		.amdhsa_user_sgpr_count 2
		.amdhsa_user_sgpr_dispatch_ptr 0
		.amdhsa_user_sgpr_queue_ptr 0
		.amdhsa_user_sgpr_kernarg_segment_ptr 1
		.amdhsa_user_sgpr_dispatch_id 0
		.amdhsa_user_sgpr_kernarg_preload_length 0
		.amdhsa_user_sgpr_kernarg_preload_offset 0
		.amdhsa_user_sgpr_private_segment_size 0
		.amdhsa_uses_dynamic_stack 0
		.amdhsa_enable_private_segment 0
		.amdhsa_system_sgpr_workgroup_id_x 1
		.amdhsa_system_sgpr_workgroup_id_y 0
		.amdhsa_system_sgpr_workgroup_id_z 0
		.amdhsa_system_sgpr_workgroup_info 0
		.amdhsa_system_vgpr_workitem_id 0
		.amdhsa_next_free_vgpr 30
		.amdhsa_next_free_sgpr 8
		.amdhsa_accum_offset 32
		.amdhsa_reserve_vcc 0
		.amdhsa_float_round_mode_32 0
		.amdhsa_float_round_mode_16_64 0
		.amdhsa_float_denorm_mode_32 3
		.amdhsa_float_denorm_mode_16_64 3
		.amdhsa_dx10_clamp 1
		.amdhsa_ieee_mode 1
		.amdhsa_fp16_overflow 0
		.amdhsa_tg_split 0
		.amdhsa_exception_fp_ieee_invalid_op 0
		.amdhsa_exception_fp_denorm_src 0
		.amdhsa_exception_fp_ieee_div_zero 0
		.amdhsa_exception_fp_ieee_overflow 0
		.amdhsa_exception_fp_ieee_underflow 0
		.amdhsa_exception_fp_ieee_inexact 0
		.amdhsa_exception_int_div_zero 0
	.end_amdhsa_kernel
	.section	.text._Z16warp_load_kernelILj256ELj8ELj32ELN6hipcub17WarpLoadAlgorithmE2EdEvPT3_S3_,"axG",@progbits,_Z16warp_load_kernelILj256ELj8ELj32ELN6hipcub17WarpLoadAlgorithmE2EdEvPT3_S3_,comdat
.Lfunc_end25:
	.size	_Z16warp_load_kernelILj256ELj8ELj32ELN6hipcub17WarpLoadAlgorithmE2EdEvPT3_S3_, .Lfunc_end25-_Z16warp_load_kernelILj256ELj8ELj32ELN6hipcub17WarpLoadAlgorithmE2EdEvPT3_S3_
                                        ; -- End function
	.section	.AMDGPU.csdata,"",@progbits
; Kernel info:
; codeLenInByte = 332
; NumSgprs: 14
; NumVgprs: 30
; NumAgprs: 0
; TotalNumVgprs: 30
; ScratchSize: 0
; MemoryBound: 0
; FloatMode: 240
; IeeeMode: 1
; LDSByteSize: 0 bytes/workgroup (compile time only)
; SGPRBlocks: 1
; VGPRBlocks: 3
; NumSGPRsForWavesPerEU: 14
; NumVGPRsForWavesPerEU: 30
; AccumOffset: 32
; Occupancy: 8
; WaveLimiterHint : 1
; COMPUTE_PGM_RSRC2:SCRATCH_EN: 0
; COMPUTE_PGM_RSRC2:USER_SGPR: 2
; COMPUTE_PGM_RSRC2:TRAP_HANDLER: 0
; COMPUTE_PGM_RSRC2:TGID_X_EN: 1
; COMPUTE_PGM_RSRC2:TGID_Y_EN: 0
; COMPUTE_PGM_RSRC2:TGID_Z_EN: 0
; COMPUTE_PGM_RSRC2:TIDIG_COMP_CNT: 0
; COMPUTE_PGM_RSRC3_GFX90A:ACCUM_OFFSET: 7
; COMPUTE_PGM_RSRC3_GFX90A:TG_SPLIT: 0
	.section	.text._Z16warp_load_kernelILj256ELj8ELj32ELN6hipcub17WarpLoadAlgorithmE3EdEvPT3_S3_,"axG",@progbits,_Z16warp_load_kernelILj256ELj8ELj32ELN6hipcub17WarpLoadAlgorithmE3EdEvPT3_S3_,comdat
	.protected	_Z16warp_load_kernelILj256ELj8ELj32ELN6hipcub17WarpLoadAlgorithmE3EdEvPT3_S3_ ; -- Begin function _Z16warp_load_kernelILj256ELj8ELj32ELN6hipcub17WarpLoadAlgorithmE3EdEvPT3_S3_
	.globl	_Z16warp_load_kernelILj256ELj8ELj32ELN6hipcub17WarpLoadAlgorithmE3EdEvPT3_S3_
	.p2align	8
	.type	_Z16warp_load_kernelILj256ELj8ELj32ELN6hipcub17WarpLoadAlgorithmE3EdEvPT3_S3_,@function
_Z16warp_load_kernelILj256ELj8ELj32ELN6hipcub17WarpLoadAlgorithmE3EdEvPT3_S3_: ; @_Z16warp_load_kernelILj256ELj8ELj32ELN6hipcub17WarpLoadAlgorithmE3EdEvPT3_S3_
; %bb.0:
	s_load_dwordx4 s[4:7], s[0:1], 0x0
	v_mbcnt_lo_u32_b32 v1, -1, 0
	v_lshrrev_b32_e32 v22, 5, v0
	v_mbcnt_hi_u32_b32 v1, -1, v1
	s_lshl_b32 s0, s2, 11
	s_waitcnt lgkmcnt(0)
	v_mov_b32_e32 v2, s4
	v_mov_b32_e32 v3, s5
	v_and_b32_e32 v24, 31, v1
	v_lshl_or_b32 v4, v22, 8, s0
	v_mov_b32_e32 v5, 0
	v_lshl_add_u64 v[2:3], v[4:5], 3, v[2:3]
	v_lshlrev_b32_e32 v4, 3, v24
	v_lshl_add_u64 v[2:3], v[2:3], 0, v[4:5]
	global_load_dwordx2 v[6:7], v[2:3], off
	global_load_dwordx2 v[8:9], v[2:3], off offset:256
	global_load_dwordx2 v[10:11], v[2:3], off offset:512
	global_load_dwordx2 v[12:13], v[2:3], off offset:768
	global_load_dwordx2 v[14:15], v[2:3], off offset:1024
	global_load_dwordx2 v[16:17], v[2:3], off offset:1280
	global_load_dwordx2 v[18:19], v[2:3], off offset:1536
	global_load_dwordx2 v[20:21], v[2:3], off offset:1792
	v_lshl_or_b32 v34, v22, 11, v4
	v_or_b32_e32 v4, s0, v0
	v_mov_b32_e32 v1, v5
	v_mov_b32_e32 v3, v5
	v_mad_u32_u24 v35, v24, 56, v34
	v_lshl_add_u64 v[28:29], v[4:5], 3, s[6:7]
	v_or_b32_e32 v0, 0x200, v4
	v_or_b32_e32 v2, 0x300, v4
	;; [unrolled: 1-line block ×6, first 2 shown]
	v_mov_b32_e32 v23, v5
	v_mov_b32_e32 v25, v5
	;; [unrolled: 1-line block ×3, first 2 shown]
	v_lshl_add_u64 v[30:31], v[0:1], 3, s[6:7]
	v_lshl_add_u64 v[32:33], v[2:3], 3, s[6:7]
	;; [unrolled: 1-line block ×5, first 2 shown]
	s_waitcnt vmcnt(6)
	ds_write2_b64 v34, v[6:7], v[8:9] offset1:32
	s_waitcnt vmcnt(4)
	ds_write2_b64 v34, v[10:11], v[12:13] offset0:64 offset1:96
	s_waitcnt vmcnt(2)
	ds_write2_b64 v34, v[14:15], v[16:17] offset0:128 offset1:160
	;; [unrolled: 2-line block ×3, first 2 shown]
	; wave barrier
	ds_read_b128 v[0:3], v35
	v_lshl_add_u64 v[16:17], v[4:5], 3, s[6:7]
	ds_read_b128 v[4:7], v35 offset:16
	ds_read_b128 v[8:11], v35 offset:32
	;; [unrolled: 1-line block ×3, first 2 shown]
	s_waitcnt lgkmcnt(3)
	global_store_dwordx2 v[28:29], v[0:1], off
	global_store_dwordx2 v[28:29], v[2:3], off offset:2048
	s_waitcnt lgkmcnt(2)
	global_store_dwordx2 v[30:31], v[4:5], off
	global_store_dwordx2 v[32:33], v[6:7], off
	s_waitcnt lgkmcnt(1)
	global_store_dwordx2 v[22:23], v[8:9], off
	global_store_dwordx2 v[24:25], v[10:11], off
	;; [unrolled: 3-line block ×3, first 2 shown]
	s_endpgm
	.section	.rodata,"a",@progbits
	.p2align	6, 0x0
	.amdhsa_kernel _Z16warp_load_kernelILj256ELj8ELj32ELN6hipcub17WarpLoadAlgorithmE3EdEvPT3_S3_
		.amdhsa_group_segment_fixed_size 16384
		.amdhsa_private_segment_fixed_size 0
		.amdhsa_kernarg_size 16
		.amdhsa_user_sgpr_count 2
		.amdhsa_user_sgpr_dispatch_ptr 0
		.amdhsa_user_sgpr_queue_ptr 0
		.amdhsa_user_sgpr_kernarg_segment_ptr 1
		.amdhsa_user_sgpr_dispatch_id 0
		.amdhsa_user_sgpr_kernarg_preload_length 0
		.amdhsa_user_sgpr_kernarg_preload_offset 0
		.amdhsa_user_sgpr_private_segment_size 0
		.amdhsa_uses_dynamic_stack 0
		.amdhsa_enable_private_segment 0
		.amdhsa_system_sgpr_workgroup_id_x 1
		.amdhsa_system_sgpr_workgroup_id_y 0
		.amdhsa_system_sgpr_workgroup_id_z 0
		.amdhsa_system_sgpr_workgroup_info 0
		.amdhsa_system_vgpr_workitem_id 0
		.amdhsa_next_free_vgpr 36
		.amdhsa_next_free_sgpr 8
		.amdhsa_accum_offset 36
		.amdhsa_reserve_vcc 0
		.amdhsa_float_round_mode_32 0
		.amdhsa_float_round_mode_16_64 0
		.amdhsa_float_denorm_mode_32 3
		.amdhsa_float_denorm_mode_16_64 3
		.amdhsa_dx10_clamp 1
		.amdhsa_ieee_mode 1
		.amdhsa_fp16_overflow 0
		.amdhsa_tg_split 0
		.amdhsa_exception_fp_ieee_invalid_op 0
		.amdhsa_exception_fp_denorm_src 0
		.amdhsa_exception_fp_ieee_div_zero 0
		.amdhsa_exception_fp_ieee_overflow 0
		.amdhsa_exception_fp_ieee_underflow 0
		.amdhsa_exception_fp_ieee_inexact 0
		.amdhsa_exception_int_div_zero 0
	.end_amdhsa_kernel
	.section	.text._Z16warp_load_kernelILj256ELj8ELj32ELN6hipcub17WarpLoadAlgorithmE3EdEvPT3_S3_,"axG",@progbits,_Z16warp_load_kernelILj256ELj8ELj32ELN6hipcub17WarpLoadAlgorithmE3EdEvPT3_S3_,comdat
.Lfunc_end26:
	.size	_Z16warp_load_kernelILj256ELj8ELj32ELN6hipcub17WarpLoadAlgorithmE3EdEvPT3_S3_, .Lfunc_end26-_Z16warp_load_kernelILj256ELj8ELj32ELN6hipcub17WarpLoadAlgorithmE3EdEvPT3_S3_
                                        ; -- End function
	.section	.AMDGPU.csdata,"",@progbits
; Kernel info:
; codeLenInByte = 452
; NumSgprs: 14
; NumVgprs: 36
; NumAgprs: 0
; TotalNumVgprs: 36
; ScratchSize: 0
; MemoryBound: 1
; FloatMode: 240
; IeeeMode: 1
; LDSByteSize: 16384 bytes/workgroup (compile time only)
; SGPRBlocks: 1
; VGPRBlocks: 4
; NumSGPRsForWavesPerEU: 14
; NumVGPRsForWavesPerEU: 36
; AccumOffset: 36
; Occupancy: 4
; WaveLimiterHint : 1
; COMPUTE_PGM_RSRC2:SCRATCH_EN: 0
; COMPUTE_PGM_RSRC2:USER_SGPR: 2
; COMPUTE_PGM_RSRC2:TRAP_HANDLER: 0
; COMPUTE_PGM_RSRC2:TGID_X_EN: 1
; COMPUTE_PGM_RSRC2:TGID_Y_EN: 0
; COMPUTE_PGM_RSRC2:TGID_Z_EN: 0
; COMPUTE_PGM_RSRC2:TIDIG_COMP_CNT: 0
; COMPUTE_PGM_RSRC3_GFX90A:ACCUM_OFFSET: 8
; COMPUTE_PGM_RSRC3_GFX90A:TG_SPLIT: 0
	.section	.text._Z16warp_load_kernelILj256ELj16ELj32ELN6hipcub17WarpLoadAlgorithmE0EdEvPT3_S3_,"axG",@progbits,_Z16warp_load_kernelILj256ELj16ELj32ELN6hipcub17WarpLoadAlgorithmE0EdEvPT3_S3_,comdat
	.protected	_Z16warp_load_kernelILj256ELj16ELj32ELN6hipcub17WarpLoadAlgorithmE0EdEvPT3_S3_ ; -- Begin function _Z16warp_load_kernelILj256ELj16ELj32ELN6hipcub17WarpLoadAlgorithmE0EdEvPT3_S3_
	.globl	_Z16warp_load_kernelILj256ELj16ELj32ELN6hipcub17WarpLoadAlgorithmE0EdEvPT3_S3_
	.p2align	8
	.type	_Z16warp_load_kernelILj256ELj16ELj32ELN6hipcub17WarpLoadAlgorithmE0EdEvPT3_S3_,@function
_Z16warp_load_kernelILj256ELj16ELj32ELN6hipcub17WarpLoadAlgorithmE0EdEvPT3_S3_: ; @_Z16warp_load_kernelILj256ELj16ELj32ELN6hipcub17WarpLoadAlgorithmE0EdEvPT3_S3_
; %bb.0:
	s_load_dwordx4 s[4:7], s[0:1], 0x0
	v_mbcnt_lo_u32_b32 v1, -1, 0
	v_lshlrev_b32_e32 v4, 4, v0
	v_mbcnt_hi_u32_b32 v1, -1, v1
	s_lshl_b32 s0, s2, 12
	v_and_b32_e32 v4, 0xe00, v4
	s_waitcnt lgkmcnt(0)
	v_mov_b32_e32 v2, s4
	v_mov_b32_e32 v3, s5
	v_or_b32_e32 v34, s0, v4
	v_mov_b32_e32 v35, 0
	v_lshlrev_b32_e32 v1, 7, v1
	v_lshl_add_u64 v[2:3], v[34:35], 3, v[2:3]
	v_and_b32_e32 v34, 0xf80, v1
	v_lshl_add_u64 v[36:37], v[2:3], 0, v[34:35]
	global_load_dwordx4 v[2:5], v[36:37], off
	global_load_dwordx4 v[6:9], v[36:37], off offset:16
	global_load_dwordx4 v[10:13], v[36:37], off offset:32
	;; [unrolled: 1-line block ×7, first 2 shown]
	v_or_b32_e32 v34, s0, v0
	v_mov_b32_e32 v1, v35
	v_mov_b32_e32 v37, v35
	;; [unrolled: 1-line block ×13, first 2 shown]
	v_lshl_add_u64 v[60:61], v[34:35], 3, s[6:7]
	v_or_b32_e32 v0, 0x200, v34
	v_or_b32_e32 v36, 0x300, v34
	;; [unrolled: 1-line block ×14, first 2 shown]
	v_lshl_add_u64 v[0:1], v[0:1], 3, s[6:7]
	v_lshl_add_u64 v[36:37], v[36:37], 3, s[6:7]
	;; [unrolled: 1-line block ×14, first 2 shown]
	s_waitcnt vmcnt(7)
	global_store_dwordx2 v[60:61], v[2:3], off
	global_store_dwordx2 v[60:61], v[4:5], off offset:2048
	s_waitcnt vmcnt(8)
	global_store_dwordx2 v[0:1], v[6:7], off
	global_store_dwordx2 v[36:37], v[8:9], off
	s_waitcnt vmcnt(9)
	global_store_dwordx2 v[38:39], v[10:11], off
	global_store_dwordx2 v[40:41], v[12:13], off
	s_waitcnt vmcnt(10)
	global_store_dwordx2 v[42:43], v[14:15], off
	global_store_dwordx2 v[44:45], v[16:17], off
	s_waitcnt vmcnt(11)
	global_store_dwordx2 v[46:47], v[18:19], off
	global_store_dwordx2 v[48:49], v[20:21], off
	s_waitcnt vmcnt(12)
	global_store_dwordx2 v[50:51], v[22:23], off
	global_store_dwordx2 v[52:53], v[24:25], off
	s_waitcnt vmcnt(13)
	global_store_dwordx2 v[54:55], v[26:27], off
	global_store_dwordx2 v[56:57], v[28:29], off
	s_waitcnt vmcnt(14)
	global_store_dwordx2 v[58:59], v[30:31], off
	global_store_dwordx2 v[34:35], v[32:33], off
	s_endpgm
	.section	.rodata,"a",@progbits
	.p2align	6, 0x0
	.amdhsa_kernel _Z16warp_load_kernelILj256ELj16ELj32ELN6hipcub17WarpLoadAlgorithmE0EdEvPT3_S3_
		.amdhsa_group_segment_fixed_size 0
		.amdhsa_private_segment_fixed_size 0
		.amdhsa_kernarg_size 16
		.amdhsa_user_sgpr_count 2
		.amdhsa_user_sgpr_dispatch_ptr 0
		.amdhsa_user_sgpr_queue_ptr 0
		.amdhsa_user_sgpr_kernarg_segment_ptr 1
		.amdhsa_user_sgpr_dispatch_id 0
		.amdhsa_user_sgpr_kernarg_preload_length 0
		.amdhsa_user_sgpr_kernarg_preload_offset 0
		.amdhsa_user_sgpr_private_segment_size 0
		.amdhsa_uses_dynamic_stack 0
		.amdhsa_enable_private_segment 0
		.amdhsa_system_sgpr_workgroup_id_x 1
		.amdhsa_system_sgpr_workgroup_id_y 0
		.amdhsa_system_sgpr_workgroup_id_z 0
		.amdhsa_system_sgpr_workgroup_info 0
		.amdhsa_system_vgpr_workitem_id 0
		.amdhsa_next_free_vgpr 62
		.amdhsa_next_free_sgpr 8
		.amdhsa_accum_offset 64
		.amdhsa_reserve_vcc 0
		.amdhsa_float_round_mode_32 0
		.amdhsa_float_round_mode_16_64 0
		.amdhsa_float_denorm_mode_32 3
		.amdhsa_float_denorm_mode_16_64 3
		.amdhsa_dx10_clamp 1
		.amdhsa_ieee_mode 1
		.amdhsa_fp16_overflow 0
		.amdhsa_tg_split 0
		.amdhsa_exception_fp_ieee_invalid_op 0
		.amdhsa_exception_fp_denorm_src 0
		.amdhsa_exception_fp_ieee_div_zero 0
		.amdhsa_exception_fp_ieee_overflow 0
		.amdhsa_exception_fp_ieee_underflow 0
		.amdhsa_exception_fp_ieee_inexact 0
		.amdhsa_exception_int_div_zero 0
	.end_amdhsa_kernel
	.section	.text._Z16warp_load_kernelILj256ELj16ELj32ELN6hipcub17WarpLoadAlgorithmE0EdEvPT3_S3_,"axG",@progbits,_Z16warp_load_kernelILj256ELj16ELj32ELN6hipcub17WarpLoadAlgorithmE0EdEvPT3_S3_,comdat
.Lfunc_end27:
	.size	_Z16warp_load_kernelILj256ELj16ELj32ELN6hipcub17WarpLoadAlgorithmE0EdEvPT3_S3_, .Lfunc_end27-_Z16warp_load_kernelILj256ELj16ELj32ELN6hipcub17WarpLoadAlgorithmE0EdEvPT3_S3_
                                        ; -- End function
	.section	.AMDGPU.csdata,"",@progbits
; Kernel info:
; codeLenInByte = 604
; NumSgprs: 14
; NumVgprs: 62
; NumAgprs: 0
; TotalNumVgprs: 62
; ScratchSize: 0
; MemoryBound: 1
; FloatMode: 240
; IeeeMode: 1
; LDSByteSize: 0 bytes/workgroup (compile time only)
; SGPRBlocks: 1
; VGPRBlocks: 7
; NumSGPRsForWavesPerEU: 14
; NumVGPRsForWavesPerEU: 62
; AccumOffset: 64
; Occupancy: 8
; WaveLimiterHint : 1
; COMPUTE_PGM_RSRC2:SCRATCH_EN: 0
; COMPUTE_PGM_RSRC2:USER_SGPR: 2
; COMPUTE_PGM_RSRC2:TRAP_HANDLER: 0
; COMPUTE_PGM_RSRC2:TGID_X_EN: 1
; COMPUTE_PGM_RSRC2:TGID_Y_EN: 0
; COMPUTE_PGM_RSRC2:TGID_Z_EN: 0
; COMPUTE_PGM_RSRC2:TIDIG_COMP_CNT: 0
; COMPUTE_PGM_RSRC3_GFX90A:ACCUM_OFFSET: 15
; COMPUTE_PGM_RSRC3_GFX90A:TG_SPLIT: 0
	.section	.text._Z16warp_load_kernelILj256ELj16ELj32ELN6hipcub17WarpLoadAlgorithmE1EdEvPT3_S3_,"axG",@progbits,_Z16warp_load_kernelILj256ELj16ELj32ELN6hipcub17WarpLoadAlgorithmE1EdEvPT3_S3_,comdat
	.protected	_Z16warp_load_kernelILj256ELj16ELj32ELN6hipcub17WarpLoadAlgorithmE1EdEvPT3_S3_ ; -- Begin function _Z16warp_load_kernelILj256ELj16ELj32ELN6hipcub17WarpLoadAlgorithmE1EdEvPT3_S3_
	.globl	_Z16warp_load_kernelILj256ELj16ELj32ELN6hipcub17WarpLoadAlgorithmE1EdEvPT3_S3_
	.p2align	8
	.type	_Z16warp_load_kernelILj256ELj16ELj32ELN6hipcub17WarpLoadAlgorithmE1EdEvPT3_S3_,@function
_Z16warp_load_kernelILj256ELj16ELj32ELN6hipcub17WarpLoadAlgorithmE1EdEvPT3_S3_: ; @_Z16warp_load_kernelILj256ELj16ELj32ELN6hipcub17WarpLoadAlgorithmE1EdEvPT3_S3_
; %bb.0:
	s_load_dwordx4 s[4:7], s[0:1], 0x0
	v_mbcnt_lo_u32_b32 v1, -1, 0
	v_lshlrev_b32_e32 v4, 4, v0
	v_mbcnt_hi_u32_b32 v1, -1, v1
	s_lshl_b32 s0, s2, 12
	v_and_b32_e32 v4, 0xe00, v4
	s_waitcnt lgkmcnt(0)
	v_mov_b32_e32 v2, s4
	v_mov_b32_e32 v3, s5
	v_and_b32_e32 v1, 31, v1
	v_or_b32_e32 v4, s0, v4
	v_mov_b32_e32 v5, 0
	v_lshl_add_u64 v[2:3], v[4:5], 3, v[2:3]
	v_lshlrev_b32_e32 v4, 3, v1
	v_lshl_add_u64 v[2:3], v[2:3], 0, v[4:5]
	global_load_dwordx2 v[6:7], v[2:3], off
	global_load_dwordx2 v[8:9], v[2:3], off offset:256
	global_load_dwordx2 v[10:11], v[2:3], off offset:512
	;; [unrolled: 1-line block ×14, first 2 shown]
	s_nop 0
	global_load_dwordx2 v[2:3], v[2:3], off offset:3840
	v_or_b32_e32 v4, s0, v0
	v_mov_b32_e32 v1, v5
	v_lshl_add_u64 v[58:59], v[4:5], 3, s[6:7]
	v_or_b32_e32 v0, 0x200, v4
	v_mov_b32_e32 v37, v5
	v_mov_b32_e32 v39, v5
	;; [unrolled: 1-line block ×11, first 2 shown]
	v_or_b32_e32 v36, 0x300, v4
	v_or_b32_e32 v38, 0x400, v4
	;; [unrolled: 1-line block ×11, first 2 shown]
	v_lshl_add_u64 v[0:1], v[0:1], 3, s[6:7]
	v_lshl_add_u64 v[36:37], v[36:37], 3, s[6:7]
	;; [unrolled: 1-line block ×12, first 2 shown]
	s_waitcnt vmcnt(15)
	global_store_dwordx2 v[58:59], v[6:7], off
	v_mov_b32_e32 v7, v5
	v_or_b32_e32 v6, 0xe00, v4
	v_or_b32_e32 v4, 0xf00, v4
	v_lshl_add_u64 v[6:7], v[6:7], 3, s[6:7]
	s_waitcnt vmcnt(15)
	global_store_dwordx2 v[58:59], v[8:9], off offset:2048
	s_waitcnt vmcnt(15)
	global_store_dwordx2 v[0:1], v[10:11], off
	s_waitcnt vmcnt(15)
	global_store_dwordx2 v[36:37], v[12:13], off
	;; [unrolled: 2-line block ×13, first 2 shown]
	v_lshl_add_u64 v[0:1], v[4:5], 3, s[6:7]
	s_waitcnt vmcnt(15)
	global_store_dwordx2 v[0:1], v[2:3], off
	s_endpgm
	.section	.rodata,"a",@progbits
	.p2align	6, 0x0
	.amdhsa_kernel _Z16warp_load_kernelILj256ELj16ELj32ELN6hipcub17WarpLoadAlgorithmE1EdEvPT3_S3_
		.amdhsa_group_segment_fixed_size 0
		.amdhsa_private_segment_fixed_size 0
		.amdhsa_kernarg_size 16
		.amdhsa_user_sgpr_count 2
		.amdhsa_user_sgpr_dispatch_ptr 0
		.amdhsa_user_sgpr_queue_ptr 0
		.amdhsa_user_sgpr_kernarg_segment_ptr 1
		.amdhsa_user_sgpr_dispatch_id 0
		.amdhsa_user_sgpr_kernarg_preload_length 0
		.amdhsa_user_sgpr_kernarg_preload_offset 0
		.amdhsa_user_sgpr_private_segment_size 0
		.amdhsa_uses_dynamic_stack 0
		.amdhsa_enable_private_segment 0
		.amdhsa_system_sgpr_workgroup_id_x 1
		.amdhsa_system_sgpr_workgroup_id_y 0
		.amdhsa_system_sgpr_workgroup_id_z 0
		.amdhsa_system_sgpr_workgroup_info 0
		.amdhsa_system_vgpr_workitem_id 0
		.amdhsa_next_free_vgpr 60
		.amdhsa_next_free_sgpr 8
		.amdhsa_accum_offset 60
		.amdhsa_reserve_vcc 0
		.amdhsa_float_round_mode_32 0
		.amdhsa_float_round_mode_16_64 0
		.amdhsa_float_denorm_mode_32 3
		.amdhsa_float_denorm_mode_16_64 3
		.amdhsa_dx10_clamp 1
		.amdhsa_ieee_mode 1
		.amdhsa_fp16_overflow 0
		.amdhsa_tg_split 0
		.amdhsa_exception_fp_ieee_invalid_op 0
		.amdhsa_exception_fp_denorm_src 0
		.amdhsa_exception_fp_ieee_div_zero 0
		.amdhsa_exception_fp_ieee_overflow 0
		.amdhsa_exception_fp_ieee_underflow 0
		.amdhsa_exception_fp_ieee_inexact 0
		.amdhsa_exception_int_div_zero 0
	.end_amdhsa_kernel
	.section	.text._Z16warp_load_kernelILj256ELj16ELj32ELN6hipcub17WarpLoadAlgorithmE1EdEvPT3_S3_,"axG",@progbits,_Z16warp_load_kernelILj256ELj16ELj32ELN6hipcub17WarpLoadAlgorithmE1EdEvPT3_S3_,comdat
.Lfunc_end28:
	.size	_Z16warp_load_kernelILj256ELj16ELj32ELN6hipcub17WarpLoadAlgorithmE1EdEvPT3_S3_, .Lfunc_end28-_Z16warp_load_kernelILj256ELj16ELj32ELN6hipcub17WarpLoadAlgorithmE1EdEvPT3_S3_
                                        ; -- End function
	.section	.AMDGPU.csdata,"",@progbits
; Kernel info:
; codeLenInByte = 700
; NumSgprs: 14
; NumVgprs: 60
; NumAgprs: 0
; TotalNumVgprs: 60
; ScratchSize: 0
; MemoryBound: 1
; FloatMode: 240
; IeeeMode: 1
; LDSByteSize: 0 bytes/workgroup (compile time only)
; SGPRBlocks: 1
; VGPRBlocks: 7
; NumSGPRsForWavesPerEU: 14
; NumVGPRsForWavesPerEU: 60
; AccumOffset: 60
; Occupancy: 8
; WaveLimiterHint : 1
; COMPUTE_PGM_RSRC2:SCRATCH_EN: 0
; COMPUTE_PGM_RSRC2:USER_SGPR: 2
; COMPUTE_PGM_RSRC2:TRAP_HANDLER: 0
; COMPUTE_PGM_RSRC2:TGID_X_EN: 1
; COMPUTE_PGM_RSRC2:TGID_Y_EN: 0
; COMPUTE_PGM_RSRC2:TGID_Z_EN: 0
; COMPUTE_PGM_RSRC2:TIDIG_COMP_CNT: 0
; COMPUTE_PGM_RSRC3_GFX90A:ACCUM_OFFSET: 14
; COMPUTE_PGM_RSRC3_GFX90A:TG_SPLIT: 0
	.section	.text._Z16warp_load_kernelILj256ELj16ELj32ELN6hipcub17WarpLoadAlgorithmE2EdEvPT3_S3_,"axG",@progbits,_Z16warp_load_kernelILj256ELj16ELj32ELN6hipcub17WarpLoadAlgorithmE2EdEvPT3_S3_,comdat
	.protected	_Z16warp_load_kernelILj256ELj16ELj32ELN6hipcub17WarpLoadAlgorithmE2EdEvPT3_S3_ ; -- Begin function _Z16warp_load_kernelILj256ELj16ELj32ELN6hipcub17WarpLoadAlgorithmE2EdEvPT3_S3_
	.globl	_Z16warp_load_kernelILj256ELj16ELj32ELN6hipcub17WarpLoadAlgorithmE2EdEvPT3_S3_
	.p2align	8
	.type	_Z16warp_load_kernelILj256ELj16ELj32ELN6hipcub17WarpLoadAlgorithmE2EdEvPT3_S3_,@function
_Z16warp_load_kernelILj256ELj16ELj32ELN6hipcub17WarpLoadAlgorithmE2EdEvPT3_S3_: ; @_Z16warp_load_kernelILj256ELj16ELj32ELN6hipcub17WarpLoadAlgorithmE2EdEvPT3_S3_
; %bb.0:
	s_load_dwordx4 s[4:7], s[0:1], 0x0
	v_mbcnt_lo_u32_b32 v1, -1, 0
	v_lshlrev_b32_e32 v4, 4, v0
	v_mbcnt_hi_u32_b32 v1, -1, v1
	s_lshl_b32 s0, s2, 12
	v_and_b32_e32 v4, 0xe00, v4
	s_waitcnt lgkmcnt(0)
	v_mov_b32_e32 v2, s4
	v_mov_b32_e32 v3, s5
	v_or_b32_e32 v34, s0, v4
	v_mov_b32_e32 v35, 0
	v_lshlrev_b32_e32 v1, 7, v1
	v_lshl_add_u64 v[2:3], v[34:35], 3, v[2:3]
	v_and_b32_e32 v34, 0xf80, v1
	v_lshl_add_u64 v[36:37], v[2:3], 0, v[34:35]
	global_load_dwordx4 v[2:5], v[36:37], off
	global_load_dwordx4 v[6:9], v[36:37], off offset:16
	global_load_dwordx4 v[10:13], v[36:37], off offset:32
	global_load_dwordx4 v[14:17], v[36:37], off offset:48
	global_load_dwordx4 v[18:21], v[36:37], off offset:64
	global_load_dwordx4 v[22:25], v[36:37], off offset:80
	global_load_dwordx4 v[26:29], v[36:37], off offset:96
	global_load_dwordx4 v[30:33], v[36:37], off offset:112
	v_or_b32_e32 v34, s0, v0
	v_mov_b32_e32 v1, v35
	v_mov_b32_e32 v37, v35
	;; [unrolled: 1-line block ×13, first 2 shown]
	v_lshl_add_u64 v[60:61], v[34:35], 3, s[6:7]
	v_or_b32_e32 v0, 0x200, v34
	v_or_b32_e32 v36, 0x300, v34
	;; [unrolled: 1-line block ×14, first 2 shown]
	v_lshl_add_u64 v[0:1], v[0:1], 3, s[6:7]
	v_lshl_add_u64 v[36:37], v[36:37], 3, s[6:7]
	v_lshl_add_u64 v[38:39], v[38:39], 3, s[6:7]
	v_lshl_add_u64 v[40:41], v[40:41], 3, s[6:7]
	v_lshl_add_u64 v[42:43], v[42:43], 3, s[6:7]
	v_lshl_add_u64 v[44:45], v[44:45], 3, s[6:7]
	v_lshl_add_u64 v[46:47], v[46:47], 3, s[6:7]
	v_lshl_add_u64 v[48:49], v[48:49], 3, s[6:7]
	v_lshl_add_u64 v[50:51], v[50:51], 3, s[6:7]
	v_lshl_add_u64 v[52:53], v[52:53], 3, s[6:7]
	v_lshl_add_u64 v[54:55], v[54:55], 3, s[6:7]
	v_lshl_add_u64 v[56:57], v[56:57], 3, s[6:7]
	v_lshl_add_u64 v[58:59], v[58:59], 3, s[6:7]
	v_lshl_add_u64 v[34:35], v[34:35], 3, s[6:7]
	s_waitcnt vmcnt(7)
	global_store_dwordx2 v[60:61], v[2:3], off
	global_store_dwordx2 v[60:61], v[4:5], off offset:2048
	s_waitcnt vmcnt(8)
	global_store_dwordx2 v[0:1], v[6:7], off
	global_store_dwordx2 v[36:37], v[8:9], off
	s_waitcnt vmcnt(9)
	global_store_dwordx2 v[38:39], v[10:11], off
	global_store_dwordx2 v[40:41], v[12:13], off
	s_waitcnt vmcnt(10)
	global_store_dwordx2 v[42:43], v[14:15], off
	global_store_dwordx2 v[44:45], v[16:17], off
	s_waitcnt vmcnt(11)
	global_store_dwordx2 v[46:47], v[18:19], off
	global_store_dwordx2 v[48:49], v[20:21], off
	s_waitcnt vmcnt(12)
	global_store_dwordx2 v[50:51], v[22:23], off
	global_store_dwordx2 v[52:53], v[24:25], off
	s_waitcnt vmcnt(13)
	global_store_dwordx2 v[54:55], v[26:27], off
	global_store_dwordx2 v[56:57], v[28:29], off
	s_waitcnt vmcnt(14)
	global_store_dwordx2 v[58:59], v[30:31], off
	global_store_dwordx2 v[34:35], v[32:33], off
	s_endpgm
	.section	.rodata,"a",@progbits
	.p2align	6, 0x0
	.amdhsa_kernel _Z16warp_load_kernelILj256ELj16ELj32ELN6hipcub17WarpLoadAlgorithmE2EdEvPT3_S3_
		.amdhsa_group_segment_fixed_size 0
		.amdhsa_private_segment_fixed_size 0
		.amdhsa_kernarg_size 16
		.amdhsa_user_sgpr_count 2
		.amdhsa_user_sgpr_dispatch_ptr 0
		.amdhsa_user_sgpr_queue_ptr 0
		.amdhsa_user_sgpr_kernarg_segment_ptr 1
		.amdhsa_user_sgpr_dispatch_id 0
		.amdhsa_user_sgpr_kernarg_preload_length 0
		.amdhsa_user_sgpr_kernarg_preload_offset 0
		.amdhsa_user_sgpr_private_segment_size 0
		.amdhsa_uses_dynamic_stack 0
		.amdhsa_enable_private_segment 0
		.amdhsa_system_sgpr_workgroup_id_x 1
		.amdhsa_system_sgpr_workgroup_id_y 0
		.amdhsa_system_sgpr_workgroup_id_z 0
		.amdhsa_system_sgpr_workgroup_info 0
		.amdhsa_system_vgpr_workitem_id 0
		.amdhsa_next_free_vgpr 62
		.amdhsa_next_free_sgpr 8
		.amdhsa_accum_offset 64
		.amdhsa_reserve_vcc 0
		.amdhsa_float_round_mode_32 0
		.amdhsa_float_round_mode_16_64 0
		.amdhsa_float_denorm_mode_32 3
		.amdhsa_float_denorm_mode_16_64 3
		.amdhsa_dx10_clamp 1
		.amdhsa_ieee_mode 1
		.amdhsa_fp16_overflow 0
		.amdhsa_tg_split 0
		.amdhsa_exception_fp_ieee_invalid_op 0
		.amdhsa_exception_fp_denorm_src 0
		.amdhsa_exception_fp_ieee_div_zero 0
		.amdhsa_exception_fp_ieee_overflow 0
		.amdhsa_exception_fp_ieee_underflow 0
		.amdhsa_exception_fp_ieee_inexact 0
		.amdhsa_exception_int_div_zero 0
	.end_amdhsa_kernel
	.section	.text._Z16warp_load_kernelILj256ELj16ELj32ELN6hipcub17WarpLoadAlgorithmE2EdEvPT3_S3_,"axG",@progbits,_Z16warp_load_kernelILj256ELj16ELj32ELN6hipcub17WarpLoadAlgorithmE2EdEvPT3_S3_,comdat
.Lfunc_end29:
	.size	_Z16warp_load_kernelILj256ELj16ELj32ELN6hipcub17WarpLoadAlgorithmE2EdEvPT3_S3_, .Lfunc_end29-_Z16warp_load_kernelILj256ELj16ELj32ELN6hipcub17WarpLoadAlgorithmE2EdEvPT3_S3_
                                        ; -- End function
	.section	.AMDGPU.csdata,"",@progbits
; Kernel info:
; codeLenInByte = 604
; NumSgprs: 14
; NumVgprs: 62
; NumAgprs: 0
; TotalNumVgprs: 62
; ScratchSize: 0
; MemoryBound: 1
; FloatMode: 240
; IeeeMode: 1
; LDSByteSize: 0 bytes/workgroup (compile time only)
; SGPRBlocks: 1
; VGPRBlocks: 7
; NumSGPRsForWavesPerEU: 14
; NumVGPRsForWavesPerEU: 62
; AccumOffset: 64
; Occupancy: 8
; WaveLimiterHint : 1
; COMPUTE_PGM_RSRC2:SCRATCH_EN: 0
; COMPUTE_PGM_RSRC2:USER_SGPR: 2
; COMPUTE_PGM_RSRC2:TRAP_HANDLER: 0
; COMPUTE_PGM_RSRC2:TGID_X_EN: 1
; COMPUTE_PGM_RSRC2:TGID_Y_EN: 0
; COMPUTE_PGM_RSRC2:TGID_Z_EN: 0
; COMPUTE_PGM_RSRC2:TIDIG_COMP_CNT: 0
; COMPUTE_PGM_RSRC3_GFX90A:ACCUM_OFFSET: 15
; COMPUTE_PGM_RSRC3_GFX90A:TG_SPLIT: 0
	.section	.text._Z16warp_load_kernelILj256ELj16ELj32ELN6hipcub17WarpLoadAlgorithmE3EdEvPT3_S3_,"axG",@progbits,_Z16warp_load_kernelILj256ELj16ELj32ELN6hipcub17WarpLoadAlgorithmE3EdEvPT3_S3_,comdat
	.protected	_Z16warp_load_kernelILj256ELj16ELj32ELN6hipcub17WarpLoadAlgorithmE3EdEvPT3_S3_ ; -- Begin function _Z16warp_load_kernelILj256ELj16ELj32ELN6hipcub17WarpLoadAlgorithmE3EdEvPT3_S3_
	.globl	_Z16warp_load_kernelILj256ELj16ELj32ELN6hipcub17WarpLoadAlgorithmE3EdEvPT3_S3_
	.p2align	8
	.type	_Z16warp_load_kernelILj256ELj16ELj32ELN6hipcub17WarpLoadAlgorithmE3EdEvPT3_S3_,@function
_Z16warp_load_kernelILj256ELj16ELj32ELN6hipcub17WarpLoadAlgorithmE3EdEvPT3_S3_: ; @_Z16warp_load_kernelILj256ELj16ELj32ELN6hipcub17WarpLoadAlgorithmE3EdEvPT3_S3_
; %bb.0:
	s_load_dwordx4 s[4:7], s[0:1], 0x0
	v_mbcnt_lo_u32_b32 v1, -1, 0
	v_lshrrev_b32_e32 v36, 5, v0
	v_mbcnt_hi_u32_b32 v1, -1, v1
	s_lshl_b32 s0, s2, 12
	s_waitcnt lgkmcnt(0)
	v_mov_b32_e32 v2, s4
	v_mov_b32_e32 v3, s5
	v_and_b32_e32 v38, 31, v1
	v_lshl_or_b32 v32, v36, 9, s0
	v_mov_b32_e32 v33, 0
	v_lshl_add_u64 v[2:3], v[32:33], 3, v[2:3]
	v_lshlrev_b32_e32 v32, 3, v38
	v_lshl_add_u64 v[2:3], v[2:3], 0, v[32:33]
	global_load_dwordx2 v[4:5], v[2:3], off
	global_load_dwordx2 v[6:7], v[2:3], off offset:256
	global_load_dwordx2 v[8:9], v[2:3], off offset:512
	;; [unrolled: 1-line block ×14, first 2 shown]
	s_nop 0
	global_load_dwordx2 v[2:3], v[2:3], off offset:3840
	s_movk_i32 s1, 0x78
	v_lshl_or_b32 v55, v36, 12, v32
	v_or_b32_e32 v32, s0, v0
	v_mov_b32_e32 v1, v33
	v_mad_u32_u24 v59, v38, s1, v55
	v_or_b32_e32 v0, 0x200, v32
	v_add_u32_e32 v58, 0x800, v55
	v_lshl_add_u64 v[56:57], v[0:1], 3, s[6:7]
	v_mov_b32_e32 v37, v33
	v_mov_b32_e32 v39, v33
	;; [unrolled: 1-line block ×8, first 2 shown]
	v_lshl_add_u64 v[52:53], v[32:33], 3, s[6:7]
	v_or_b32_e32 v36, 0x300, v32
	v_or_b32_e32 v38, 0x400, v32
	;; [unrolled: 1-line block ×9, first 2 shown]
	v_lshl_add_u64 v[36:37], v[36:37], 3, s[6:7]
	v_lshl_add_u64 v[38:39], v[38:39], 3, s[6:7]
	;; [unrolled: 1-line block ×8, first 2 shown]
	s_waitcnt vmcnt(14)
	ds_write2_b64 v55, v[4:5], v[6:7] offset1:32
	s_waitcnt vmcnt(12)
	ds_write2_b64 v55, v[8:9], v[10:11] offset0:64 offset1:96
	s_waitcnt vmcnt(10)
	ds_write2_b64 v55, v[12:13], v[14:15] offset0:128 offset1:160
	;; [unrolled: 2-line block ×3, first 2 shown]
	s_waitcnt vmcnt(6)
	ds_write2_b64 v58, v[20:21], v[22:23] offset1:32
	s_waitcnt vmcnt(4)
	ds_write2_b64 v58, v[24:25], v[26:27] offset0:64 offset1:96
	s_waitcnt vmcnt(2)
	ds_write2_b64 v58, v[28:29], v[30:31] offset0:128 offset1:160
	;; [unrolled: 2-line block ×3, first 2 shown]
	; wave barrier
	ds_read_b128 v[0:3], v59
	ds_read_b128 v[4:7], v59 offset:16
	ds_read_b128 v[8:11], v59 offset:32
	;; [unrolled: 1-line block ×7, first 2 shown]
	v_mov_b32_e32 v55, v33
	s_waitcnt lgkmcnt(7)
	global_store_dwordx2 v[52:53], v[0:1], off
	global_store_dwordx2 v[52:53], v[2:3], off offset:2048
	s_waitcnt lgkmcnt(6)
	global_store_dwordx2 v[56:57], v[4:5], off
	global_store_dwordx2 v[36:37], v[6:7], off
	s_waitcnt lgkmcnt(5)
	global_store_dwordx2 v[38:39], v[8:9], off
	global_store_dwordx2 v[40:41], v[10:11], off
	;; [unrolled: 3-line block ×4, first 2 shown]
	s_waitcnt lgkmcnt(2)
	global_store_dwordx2 v[50:51], v[20:21], off
	v_lshl_add_u64 v[0:1], v[54:55], 3, s[6:7]
	global_store_dwordx2 v[0:1], v[22:23], off
	v_or_b32_e32 v0, 0xc00, v32
	v_mov_b32_e32 v1, v33
	v_lshl_add_u64 v[0:1], v[0:1], 3, s[6:7]
	s_waitcnt lgkmcnt(1)
	global_store_dwordx2 v[0:1], v[24:25], off
	v_or_b32_e32 v0, 0xd00, v32
	v_mov_b32_e32 v1, v33
	v_lshl_add_u64 v[0:1], v[0:1], 3, s[6:7]
	global_store_dwordx2 v[0:1], v[26:27], off
	v_or_b32_e32 v0, 0xe00, v32
	v_mov_b32_e32 v1, v33
	v_lshl_add_u64 v[0:1], v[0:1], 3, s[6:7]
	v_or_b32_e32 v32, 0xf00, v32
	s_waitcnt lgkmcnt(0)
	global_store_dwordx2 v[0:1], v[28:29], off
	v_lshl_add_u64 v[0:1], v[32:33], 3, s[6:7]
	global_store_dwordx2 v[0:1], v[30:31], off
	s_endpgm
	.section	.rodata,"a",@progbits
	.p2align	6, 0x0
	.amdhsa_kernel _Z16warp_load_kernelILj256ELj16ELj32ELN6hipcub17WarpLoadAlgorithmE3EdEvPT3_S3_
		.amdhsa_group_segment_fixed_size 32768
		.amdhsa_private_segment_fixed_size 0
		.amdhsa_kernarg_size 16
		.amdhsa_user_sgpr_count 2
		.amdhsa_user_sgpr_dispatch_ptr 0
		.amdhsa_user_sgpr_queue_ptr 0
		.amdhsa_user_sgpr_kernarg_segment_ptr 1
		.amdhsa_user_sgpr_dispatch_id 0
		.amdhsa_user_sgpr_kernarg_preload_length 0
		.amdhsa_user_sgpr_kernarg_preload_offset 0
		.amdhsa_user_sgpr_private_segment_size 0
		.amdhsa_uses_dynamic_stack 0
		.amdhsa_enable_private_segment 0
		.amdhsa_system_sgpr_workgroup_id_x 1
		.amdhsa_system_sgpr_workgroup_id_y 0
		.amdhsa_system_sgpr_workgroup_id_z 0
		.amdhsa_system_sgpr_workgroup_info 0
		.amdhsa_system_vgpr_workitem_id 0
		.amdhsa_next_free_vgpr 60
		.amdhsa_next_free_sgpr 8
		.amdhsa_accum_offset 60
		.amdhsa_reserve_vcc 0
		.amdhsa_float_round_mode_32 0
		.amdhsa_float_round_mode_16_64 0
		.amdhsa_float_denorm_mode_32 3
		.amdhsa_float_denorm_mode_16_64 3
		.amdhsa_dx10_clamp 1
		.amdhsa_ieee_mode 1
		.amdhsa_fp16_overflow 0
		.amdhsa_tg_split 0
		.amdhsa_exception_fp_ieee_invalid_op 0
		.amdhsa_exception_fp_denorm_src 0
		.amdhsa_exception_fp_ieee_div_zero 0
		.amdhsa_exception_fp_ieee_overflow 0
		.amdhsa_exception_fp_ieee_underflow 0
		.amdhsa_exception_fp_ieee_inexact 0
		.amdhsa_exception_int_div_zero 0
	.end_amdhsa_kernel
	.section	.text._Z16warp_load_kernelILj256ELj16ELj32ELN6hipcub17WarpLoadAlgorithmE3EdEvPT3_S3_,"axG",@progbits,_Z16warp_load_kernelILj256ELj16ELj32ELN6hipcub17WarpLoadAlgorithmE3EdEvPT3_S3_,comdat
.Lfunc_end30:
	.size	_Z16warp_load_kernelILj256ELj16ELj32ELN6hipcub17WarpLoadAlgorithmE3EdEvPT3_S3_, .Lfunc_end30-_Z16warp_load_kernelILj256ELj16ELj32ELN6hipcub17WarpLoadAlgorithmE3EdEvPT3_S3_
                                        ; -- End function
	.section	.AMDGPU.csdata,"",@progbits
; Kernel info:
; codeLenInByte = 852
; NumSgprs: 14
; NumVgprs: 60
; NumAgprs: 0
; TotalNumVgprs: 60
; ScratchSize: 0
; MemoryBound: 1
; FloatMode: 240
; IeeeMode: 1
; LDSByteSize: 32768 bytes/workgroup (compile time only)
; SGPRBlocks: 1
; VGPRBlocks: 7
; NumSGPRsForWavesPerEU: 14
; NumVGPRsForWavesPerEU: 60
; AccumOffset: 60
; Occupancy: 2
; WaveLimiterHint : 1
; COMPUTE_PGM_RSRC2:SCRATCH_EN: 0
; COMPUTE_PGM_RSRC2:USER_SGPR: 2
; COMPUTE_PGM_RSRC2:TRAP_HANDLER: 0
; COMPUTE_PGM_RSRC2:TGID_X_EN: 1
; COMPUTE_PGM_RSRC2:TGID_Y_EN: 0
; COMPUTE_PGM_RSRC2:TGID_Z_EN: 0
; COMPUTE_PGM_RSRC2:TIDIG_COMP_CNT: 0
; COMPUTE_PGM_RSRC3_GFX90A:ACCUM_OFFSET: 14
; COMPUTE_PGM_RSRC3_GFX90A:TG_SPLIT: 0
	.section	.text._Z16warp_load_kernelILj256ELj32ELj32ELN6hipcub17WarpLoadAlgorithmE0EdEvPT3_S3_,"axG",@progbits,_Z16warp_load_kernelILj256ELj32ELj32ELN6hipcub17WarpLoadAlgorithmE0EdEvPT3_S3_,comdat
	.protected	_Z16warp_load_kernelILj256ELj32ELj32ELN6hipcub17WarpLoadAlgorithmE0EdEvPT3_S3_ ; -- Begin function _Z16warp_load_kernelILj256ELj32ELj32ELN6hipcub17WarpLoadAlgorithmE0EdEvPT3_S3_
	.globl	_Z16warp_load_kernelILj256ELj32ELj32ELN6hipcub17WarpLoadAlgorithmE0EdEvPT3_S3_
	.p2align	8
	.type	_Z16warp_load_kernelILj256ELj32ELj32ELN6hipcub17WarpLoadAlgorithmE0EdEvPT3_S3_,@function
_Z16warp_load_kernelILj256ELj32ELj32ELN6hipcub17WarpLoadAlgorithmE0EdEvPT3_S3_: ; @_Z16warp_load_kernelILj256ELj32ELj32ELN6hipcub17WarpLoadAlgorithmE0EdEvPT3_S3_
; %bb.0:
	s_load_dwordx4 s[4:7], s[0:1], 0x0
	v_mbcnt_lo_u32_b32 v1, -1, 0
	v_lshlrev_b32_e32 v2, 5, v0
	v_mbcnt_hi_u32_b32 v1, -1, v1
	s_lshl_b32 s0, s2, 13
	v_and_b32_e32 v2, 0x1c00, v2
	s_waitcnt lgkmcnt(0)
	v_mov_b32_e32 v4, s4
	v_mov_b32_e32 v5, s5
	v_or_b32_e32 v2, s0, v2
	v_mov_b32_e32 v3, 0
	v_lshlrev_b32_e32 v1, 8, v1
	v_lshl_add_u64 v[4:5], v[2:3], 3, v[4:5]
	v_and_b32_e32 v2, 0x1f00, v1
	v_lshl_add_u64 v[68:69], v[4:5], 0, v[2:3]
	global_load_dwordx4 v[4:7], v[68:69], off
	global_load_dwordx4 v[8:11], v[68:69], off offset:16
	global_load_dwordx4 v[12:15], v[68:69], off offset:32
	;; [unrolled: 1-line block ×15, first 2 shown]
	v_or_b32_e32 v2, s0, v0
	v_mov_b32_e32 v1, v3
	v_or_b32_e32 v0, 0x200, v2
	v_mov_b32_e32 v71, v3
	v_mov_b32_e32 v73, v3
	;; [unrolled: 1-line block ×12, first 2 shown]
	v_lshl_add_u64 v[68:69], v[2:3], 3, s[6:7]
	v_or_b32_e32 v70, 0x300, v2
	v_or_b32_e32 v72, 0x400, v2
	;; [unrolled: 1-line block ×13, first 2 shown]
	v_lshl_add_u64 v[0:1], v[0:1], 3, s[6:7]
	v_mov_b32_e32 v95, v3
	v_lshl_add_u64 v[70:71], v[70:71], 3, s[6:7]
	v_lshl_add_u64 v[72:73], v[72:73], 3, s[6:7]
	;; [unrolled: 1-line block ×12, first 2 shown]
	s_waitcnt vmcnt(15)
	global_store_dwordx2 v[68:69], v[4:5], off
	global_store_dwordx2 v[68:69], v[6:7], off offset:2048
	s_waitcnt vmcnt(16)
	global_store_dwordx2 v[0:1], v[8:9], off
	global_store_dwordx2 v[70:71], v[10:11], off
	s_waitcnt vmcnt(17)
	global_store_dwordx2 v[72:73], v[12:13], off
	global_store_dwordx2 v[74:75], v[14:15], off
	;; [unrolled: 3-line block ×6, first 2 shown]
	s_waitcnt vmcnt(22)
	global_store_dwordx2 v[92:93], v[32:33], off
	v_lshl_add_u64 v[0:1], v[94:95], 3, s[6:7]
	global_store_dwordx2 v[0:1], v[34:35], off
	v_or_b32_e32 v0, 0x1000, v2
	v_mov_b32_e32 v1, v3
	v_lshl_add_u64 v[0:1], v[0:1], 3, s[6:7]
	s_waitcnt vmcnt(23)
	global_store_dwordx2 v[0:1], v[36:37], off
	v_or_b32_e32 v0, 0x1100, v2
	v_mov_b32_e32 v1, v3
	v_lshl_add_u64 v[0:1], v[0:1], 3, s[6:7]
	global_store_dwordx2 v[0:1], v[38:39], off
	v_or_b32_e32 v0, 0x1200, v2
	v_mov_b32_e32 v1, v3
	v_lshl_add_u64 v[0:1], v[0:1], 3, s[6:7]
	s_waitcnt vmcnt(24)
	global_store_dwordx2 v[0:1], v[40:41], off
	v_or_b32_e32 v0, 0x1300, v2
	v_mov_b32_e32 v1, v3
	;; [unrolled: 9-line block ×3, first 2 shown]
	v_lshl_add_u64 v[0:1], v[0:1], 3, s[6:7]
	global_store_dwordx2 v[0:1], v[50:51], off
	v_or_b32_e32 v0, 0x1600, v2
	v_mov_b32_e32 v1, v3
	v_lshl_add_u64 v[0:1], v[0:1], 3, s[6:7]
	global_store_dwordx2 v[0:1], v[44:45], off
	v_or_b32_e32 v0, 0x1700, v2
	v_mov_b32_e32 v1, v3
	;; [unrolled: 4-line block ×3, first 2 shown]
	v_lshl_add_u64 v[0:1], v[0:1], 3, s[6:7]
	s_waitcnt vmcnt(24)
	global_store_dwordx2 v[0:1], v[64:65], off
	v_or_b32_e32 v0, 0x1900, v2
	v_mov_b32_e32 v1, v3
	v_lshl_add_u64 v[0:1], v[0:1], 3, s[6:7]
	global_store_dwordx2 v[0:1], v[66:67], off
	v_or_b32_e32 v0, 0x1a00, v2
	v_mov_b32_e32 v1, v3
	v_lshl_add_u64 v[0:1], v[0:1], 3, s[6:7]
	;; [unrolled: 4-line block ×6, first 2 shown]
	v_or_b32_e32 v2, 0x1f00, v2
	global_store_dwordx2 v[0:1], v[52:53], off
	v_lshl_add_u64 v[0:1], v[2:3], 3, s[6:7]
	global_store_dwordx2 v[0:1], v[54:55], off
	s_endpgm
	.section	.rodata,"a",@progbits
	.p2align	6, 0x0
	.amdhsa_kernel _Z16warp_load_kernelILj256ELj32ELj32ELN6hipcub17WarpLoadAlgorithmE0EdEvPT3_S3_
		.amdhsa_group_segment_fixed_size 0
		.amdhsa_private_segment_fixed_size 0
		.amdhsa_kernarg_size 16
		.amdhsa_user_sgpr_count 2
		.amdhsa_user_sgpr_dispatch_ptr 0
		.amdhsa_user_sgpr_queue_ptr 0
		.amdhsa_user_sgpr_kernarg_segment_ptr 1
		.amdhsa_user_sgpr_dispatch_id 0
		.amdhsa_user_sgpr_kernarg_preload_length 0
		.amdhsa_user_sgpr_kernarg_preload_offset 0
		.amdhsa_user_sgpr_private_segment_size 0
		.amdhsa_uses_dynamic_stack 0
		.amdhsa_enable_private_segment 0
		.amdhsa_system_sgpr_workgroup_id_x 1
		.amdhsa_system_sgpr_workgroup_id_y 0
		.amdhsa_system_sgpr_workgroup_id_z 0
		.amdhsa_system_sgpr_workgroup_info 0
		.amdhsa_system_vgpr_workitem_id 0
		.amdhsa_next_free_vgpr 96
		.amdhsa_next_free_sgpr 8
		.amdhsa_accum_offset 96
		.amdhsa_reserve_vcc 0
		.amdhsa_float_round_mode_32 0
		.amdhsa_float_round_mode_16_64 0
		.amdhsa_float_denorm_mode_32 3
		.amdhsa_float_denorm_mode_16_64 3
		.amdhsa_dx10_clamp 1
		.amdhsa_ieee_mode 1
		.amdhsa_fp16_overflow 0
		.amdhsa_tg_split 0
		.amdhsa_exception_fp_ieee_invalid_op 0
		.amdhsa_exception_fp_denorm_src 0
		.amdhsa_exception_fp_ieee_div_zero 0
		.amdhsa_exception_fp_ieee_overflow 0
		.amdhsa_exception_fp_ieee_underflow 0
		.amdhsa_exception_fp_ieee_inexact 0
		.amdhsa_exception_int_div_zero 0
	.end_amdhsa_kernel
	.section	.text._Z16warp_load_kernelILj256ELj32ELj32ELN6hipcub17WarpLoadAlgorithmE0EdEvPT3_S3_,"axG",@progbits,_Z16warp_load_kernelILj256ELj32ELj32ELN6hipcub17WarpLoadAlgorithmE0EdEvPT3_S3_,comdat
.Lfunc_end31:
	.size	_Z16warp_load_kernelILj256ELj32ELj32ELN6hipcub17WarpLoadAlgorithmE0EdEvPT3_S3_, .Lfunc_end31-_Z16warp_load_kernelILj256ELj32ELj32ELN6hipcub17WarpLoadAlgorithmE0EdEvPT3_S3_
                                        ; -- End function
	.section	.AMDGPU.csdata,"",@progbits
; Kernel info:
; codeLenInByte = 1132
; NumSgprs: 14
; NumVgprs: 96
; NumAgprs: 0
; TotalNumVgprs: 96
; ScratchSize: 0
; MemoryBound: 1
; FloatMode: 240
; IeeeMode: 1
; LDSByteSize: 0 bytes/workgroup (compile time only)
; SGPRBlocks: 1
; VGPRBlocks: 11
; NumSGPRsForWavesPerEU: 14
; NumVGPRsForWavesPerEU: 96
; AccumOffset: 96
; Occupancy: 5
; WaveLimiterHint : 1
; COMPUTE_PGM_RSRC2:SCRATCH_EN: 0
; COMPUTE_PGM_RSRC2:USER_SGPR: 2
; COMPUTE_PGM_RSRC2:TRAP_HANDLER: 0
; COMPUTE_PGM_RSRC2:TGID_X_EN: 1
; COMPUTE_PGM_RSRC2:TGID_Y_EN: 0
; COMPUTE_PGM_RSRC2:TGID_Z_EN: 0
; COMPUTE_PGM_RSRC2:TIDIG_COMP_CNT: 0
; COMPUTE_PGM_RSRC3_GFX90A:ACCUM_OFFSET: 23
; COMPUTE_PGM_RSRC3_GFX90A:TG_SPLIT: 0
	.section	.text._Z16warp_load_kernelILj256ELj32ELj32ELN6hipcub17WarpLoadAlgorithmE1EdEvPT3_S3_,"axG",@progbits,_Z16warp_load_kernelILj256ELj32ELj32ELN6hipcub17WarpLoadAlgorithmE1EdEvPT3_S3_,comdat
	.protected	_Z16warp_load_kernelILj256ELj32ELj32ELN6hipcub17WarpLoadAlgorithmE1EdEvPT3_S3_ ; -- Begin function _Z16warp_load_kernelILj256ELj32ELj32ELN6hipcub17WarpLoadAlgorithmE1EdEvPT3_S3_
	.globl	_Z16warp_load_kernelILj256ELj32ELj32ELN6hipcub17WarpLoadAlgorithmE1EdEvPT3_S3_
	.p2align	8
	.type	_Z16warp_load_kernelILj256ELj32ELj32ELN6hipcub17WarpLoadAlgorithmE1EdEvPT3_S3_,@function
_Z16warp_load_kernelILj256ELj32ELj32ELN6hipcub17WarpLoadAlgorithmE1EdEvPT3_S3_: ; @_Z16warp_load_kernelILj256ELj32ELj32ELN6hipcub17WarpLoadAlgorithmE1EdEvPT3_S3_
; %bb.0:
	s_load_dwordx4 s[4:7], s[0:1], 0x0
	v_mbcnt_lo_u32_b32 v1, -1, 0
	v_lshlrev_b32_e32 v2, 5, v0
	v_mbcnt_hi_u32_b32 v1, -1, v1
	s_lshl_b32 s0, s2, 13
	v_and_b32_e32 v2, 0x1c00, v2
	s_waitcnt lgkmcnt(0)
	v_mov_b32_e32 v4, s4
	v_mov_b32_e32 v5, s5
	v_and_b32_e32 v1, 31, v1
	v_or_b32_e32 v2, s0, v2
	v_mov_b32_e32 v3, 0
	v_lshl_add_u64 v[4:5], v[2:3], 3, v[4:5]
	v_lshlrev_b32_e32 v2, 3, v1
	v_lshl_add_u64 v[4:5], v[4:5], 0, v[2:3]
	global_load_dwordx2 v[6:7], v[4:5], off
	global_load_dwordx2 v[8:9], v[4:5], off offset:256
	global_load_dwordx2 v[10:11], v[4:5], off offset:512
	;; [unrolled: 1-line block ×14, first 2 shown]
	s_movk_i32 s1, 0x1000
	global_load_dwordx2 v[36:37], v[4:5], off offset:3840
	v_add_co_u32_e32 v4, vcc, s1, v4
	v_or_b32_e32 v2, s0, v0
	s_nop 0
	v_addc_co_u32_e32 v5, vcc, 0, v5, vcc
	global_load_dwordx2 v[38:39], v[4:5], off
	global_load_dwordx2 v[40:41], v[4:5], off offset:256
	global_load_dwordx2 v[42:43], v[4:5], off offset:512
	;; [unrolled: 1-line block ×15, first 2 shown]
	v_lshl_add_u64 v[0:1], v[2:3], 3, s[6:7]
	v_mov_b32_e32 v5, v3
	v_or_b32_e32 v4, 0x200, v2
	v_lshl_add_u64 v[4:5], v[4:5], 3, s[6:7]
	s_waitcnt vmcnt(31)
	global_store_dwordx2 v[0:1], v[6:7], off
	s_waitcnt vmcnt(31)
	global_store_dwordx2 v[0:1], v[8:9], off offset:2048
	v_mov_b32_e32 v1, v3
	v_or_b32_e32 v0, 0x300, v2
	v_mov_b32_e32 v7, v3
	v_lshl_add_u64 v[0:1], v[0:1], 3, s[6:7]
	v_or_b32_e32 v6, 0x400, v2
	s_waitcnt vmcnt(31)
	global_store_dwordx2 v[4:5], v[10:11], off
	v_mov_b32_e32 v5, v3
	s_waitcnt vmcnt(31)
	global_store_dwordx2 v[0:1], v[12:13], off
	v_mov_b32_e32 v1, v3
	v_lshl_add_u64 v[6:7], v[6:7], 3, s[6:7]
	v_or_b32_e32 v4, 0x500, v2
	v_or_b32_e32 v0, 0x700, v2
	v_mov_b32_e32 v9, v3
	v_mov_b32_e32 v11, v3
	s_waitcnt vmcnt(31)
	global_store_dwordx2 v[6:7], v[14:15], off
	v_mov_b32_e32 v7, v3
	v_or_b32_e32 v8, 0x600, v2
	v_or_b32_e32 v10, 0x800, v2
	;; [unrolled: 1-line block ×3, first 2 shown]
	v_lshl_add_u64 v[4:5], v[4:5], 3, s[6:7]
	v_lshl_add_u64 v[0:1], v[0:1], 3, s[6:7]
	;; [unrolled: 1-line block ×5, first 2 shown]
	s_waitcnt vmcnt(31)
	global_store_dwordx2 v[4:5], v[16:17], off
	s_waitcnt vmcnt(31)
	global_store_dwordx2 v[8:9], v[18:19], off
	;; [unrolled: 2-line block ×5, first 2 shown]
	v_or_b32_e32 v0, 0xa00, v2
	v_mov_b32_e32 v1, v3
	v_lshl_add_u64 v[0:1], v[0:1], 3, s[6:7]
	s_waitcnt vmcnt(31)
	global_store_dwordx2 v[0:1], v[26:27], off
	v_or_b32_e32 v0, 0xb00, v2
	v_mov_b32_e32 v1, v3
	v_lshl_add_u64 v[0:1], v[0:1], 3, s[6:7]
	s_waitcnt vmcnt(31)
	global_store_dwordx2 v[0:1], v[28:29], off
	v_or_b32_e32 v0, 0xc00, v2
	v_mov_b32_e32 v1, v3
	v_lshl_add_u64 v[0:1], v[0:1], 3, s[6:7]
	s_waitcnt vmcnt(31)
	global_store_dwordx2 v[0:1], v[30:31], off
	v_or_b32_e32 v0, 0xd00, v2
	v_mov_b32_e32 v1, v3
	v_lshl_add_u64 v[0:1], v[0:1], 3, s[6:7]
	s_waitcnt vmcnt(31)
	global_store_dwordx2 v[0:1], v[32:33], off
	v_or_b32_e32 v0, 0xe00, v2
	v_mov_b32_e32 v1, v3
	v_lshl_add_u64 v[0:1], v[0:1], 3, s[6:7]
	s_waitcnt vmcnt(31)
	global_store_dwordx2 v[0:1], v[34:35], off
	v_or_b32_e32 v0, 0xf00, v2
	v_mov_b32_e32 v1, v3
	v_lshl_add_u64 v[0:1], v[0:1], 3, s[6:7]
	s_waitcnt vmcnt(31)
	global_store_dwordx2 v[0:1], v[36:37], off
	v_or_b32_e32 v0, 0x1000, v2
	v_mov_b32_e32 v1, v3
	v_lshl_add_u64 v[0:1], v[0:1], 3, s[6:7]
	s_waitcnt vmcnt(31)
	global_store_dwordx2 v[0:1], v[38:39], off
	v_or_b32_e32 v0, 0x1100, v2
	v_mov_b32_e32 v1, v3
	v_lshl_add_u64 v[0:1], v[0:1], 3, s[6:7]
	s_waitcnt vmcnt(31)
	global_store_dwordx2 v[0:1], v[40:41], off
	v_or_b32_e32 v0, 0x1200, v2
	v_mov_b32_e32 v1, v3
	v_lshl_add_u64 v[0:1], v[0:1], 3, s[6:7]
	s_waitcnt vmcnt(31)
	global_store_dwordx2 v[0:1], v[42:43], off
	v_or_b32_e32 v0, 0x1300, v2
	v_mov_b32_e32 v1, v3
	v_lshl_add_u64 v[0:1], v[0:1], 3, s[6:7]
	s_waitcnt vmcnt(31)
	global_store_dwordx2 v[0:1], v[44:45], off
	v_or_b32_e32 v0, 0x1400, v2
	v_mov_b32_e32 v1, v3
	v_lshl_add_u64 v[0:1], v[0:1], 3, s[6:7]
	s_waitcnt vmcnt(31)
	global_store_dwordx2 v[0:1], v[46:47], off
	v_or_b32_e32 v0, 0x1500, v2
	v_mov_b32_e32 v1, v3
	v_lshl_add_u64 v[0:1], v[0:1], 3, s[6:7]
	s_waitcnt vmcnt(31)
	global_store_dwordx2 v[0:1], v[48:49], off
	v_or_b32_e32 v0, 0x1600, v2
	v_mov_b32_e32 v1, v3
	v_lshl_add_u64 v[0:1], v[0:1], 3, s[6:7]
	s_waitcnt vmcnt(31)
	global_store_dwordx2 v[0:1], v[50:51], off
	v_or_b32_e32 v0, 0x1700, v2
	v_mov_b32_e32 v1, v3
	v_lshl_add_u64 v[0:1], v[0:1], 3, s[6:7]
	s_waitcnt vmcnt(31)
	global_store_dwordx2 v[0:1], v[52:53], off
	v_or_b32_e32 v0, 0x1800, v2
	v_mov_b32_e32 v1, v3
	v_lshl_add_u64 v[0:1], v[0:1], 3, s[6:7]
	s_waitcnt vmcnt(31)
	global_store_dwordx2 v[0:1], v[54:55], off
	v_or_b32_e32 v0, 0x1900, v2
	v_mov_b32_e32 v1, v3
	v_lshl_add_u64 v[0:1], v[0:1], 3, s[6:7]
	s_waitcnt vmcnt(31)
	global_store_dwordx2 v[0:1], v[56:57], off
	v_or_b32_e32 v0, 0x1a00, v2
	v_mov_b32_e32 v1, v3
	v_lshl_add_u64 v[0:1], v[0:1], 3, s[6:7]
	s_waitcnt vmcnt(31)
	global_store_dwordx2 v[0:1], v[58:59], off
	v_or_b32_e32 v0, 0x1b00, v2
	v_mov_b32_e32 v1, v3
	v_lshl_add_u64 v[0:1], v[0:1], 3, s[6:7]
	s_waitcnt vmcnt(31)
	global_store_dwordx2 v[0:1], v[60:61], off
	v_or_b32_e32 v0, 0x1c00, v2
	v_mov_b32_e32 v1, v3
	v_lshl_add_u64 v[0:1], v[0:1], 3, s[6:7]
	s_waitcnt vmcnt(31)
	global_store_dwordx2 v[0:1], v[62:63], off
	v_or_b32_e32 v0, 0x1d00, v2
	v_mov_b32_e32 v1, v3
	v_lshl_add_u64 v[0:1], v[0:1], 3, s[6:7]
	s_waitcnt vmcnt(31)
	global_store_dwordx2 v[0:1], v[64:65], off
	v_or_b32_e32 v0, 0x1e00, v2
	v_mov_b32_e32 v1, v3
	v_lshl_add_u64 v[0:1], v[0:1], 3, s[6:7]
	v_or_b32_e32 v2, 0x1f00, v2
	s_waitcnt vmcnt(31)
	global_store_dwordx2 v[0:1], v[66:67], off
	v_lshl_add_u64 v[0:1], v[2:3], 3, s[6:7]
	s_waitcnt vmcnt(31)
	global_store_dwordx2 v[0:1], v[68:69], off
	s_endpgm
	.section	.rodata,"a",@progbits
	.p2align	6, 0x0
	.amdhsa_kernel _Z16warp_load_kernelILj256ELj32ELj32ELN6hipcub17WarpLoadAlgorithmE1EdEvPT3_S3_
		.amdhsa_group_segment_fixed_size 0
		.amdhsa_private_segment_fixed_size 0
		.amdhsa_kernarg_size 16
		.amdhsa_user_sgpr_count 2
		.amdhsa_user_sgpr_dispatch_ptr 0
		.amdhsa_user_sgpr_queue_ptr 0
		.amdhsa_user_sgpr_kernarg_segment_ptr 1
		.amdhsa_user_sgpr_dispatch_id 0
		.amdhsa_user_sgpr_kernarg_preload_length 0
		.amdhsa_user_sgpr_kernarg_preload_offset 0
		.amdhsa_user_sgpr_private_segment_size 0
		.amdhsa_uses_dynamic_stack 0
		.amdhsa_enable_private_segment 0
		.amdhsa_system_sgpr_workgroup_id_x 1
		.amdhsa_system_sgpr_workgroup_id_y 0
		.amdhsa_system_sgpr_workgroup_id_z 0
		.amdhsa_system_sgpr_workgroup_info 0
		.amdhsa_system_vgpr_workitem_id 0
		.amdhsa_next_free_vgpr 70
		.amdhsa_next_free_sgpr 8
		.amdhsa_accum_offset 72
		.amdhsa_reserve_vcc 1
		.amdhsa_float_round_mode_32 0
		.amdhsa_float_round_mode_16_64 0
		.amdhsa_float_denorm_mode_32 3
		.amdhsa_float_denorm_mode_16_64 3
		.amdhsa_dx10_clamp 1
		.amdhsa_ieee_mode 1
		.amdhsa_fp16_overflow 0
		.amdhsa_tg_split 0
		.amdhsa_exception_fp_ieee_invalid_op 0
		.amdhsa_exception_fp_denorm_src 0
		.amdhsa_exception_fp_ieee_div_zero 0
		.amdhsa_exception_fp_ieee_overflow 0
		.amdhsa_exception_fp_ieee_underflow 0
		.amdhsa_exception_fp_ieee_inexact 0
		.amdhsa_exception_int_div_zero 0
	.end_amdhsa_kernel
	.section	.text._Z16warp_load_kernelILj256ELj32ELj32ELN6hipcub17WarpLoadAlgorithmE1EdEvPT3_S3_,"axG",@progbits,_Z16warp_load_kernelILj256ELj32ELj32ELN6hipcub17WarpLoadAlgorithmE1EdEvPT3_S3_,comdat
.Lfunc_end32:
	.size	_Z16warp_load_kernelILj256ELj32ELj32ELN6hipcub17WarpLoadAlgorithmE1EdEvPT3_S3_, .Lfunc_end32-_Z16warp_load_kernelILj256ELj32ELj32ELN6hipcub17WarpLoadAlgorithmE1EdEvPT3_S3_
                                        ; -- End function
	.section	.AMDGPU.csdata,"",@progbits
; Kernel info:
; codeLenInByte = 1352
; NumSgprs: 14
; NumVgprs: 70
; NumAgprs: 0
; TotalNumVgprs: 70
; ScratchSize: 0
; MemoryBound: 1
; FloatMode: 240
; IeeeMode: 1
; LDSByteSize: 0 bytes/workgroup (compile time only)
; SGPRBlocks: 1
; VGPRBlocks: 8
; NumSGPRsForWavesPerEU: 14
; NumVGPRsForWavesPerEU: 70
; AccumOffset: 72
; Occupancy: 7
; WaveLimiterHint : 1
; COMPUTE_PGM_RSRC2:SCRATCH_EN: 0
; COMPUTE_PGM_RSRC2:USER_SGPR: 2
; COMPUTE_PGM_RSRC2:TRAP_HANDLER: 0
; COMPUTE_PGM_RSRC2:TGID_X_EN: 1
; COMPUTE_PGM_RSRC2:TGID_Y_EN: 0
; COMPUTE_PGM_RSRC2:TGID_Z_EN: 0
; COMPUTE_PGM_RSRC2:TIDIG_COMP_CNT: 0
; COMPUTE_PGM_RSRC3_GFX90A:ACCUM_OFFSET: 17
; COMPUTE_PGM_RSRC3_GFX90A:TG_SPLIT: 0
	.section	.text._Z16warp_load_kernelILj256ELj32ELj32ELN6hipcub17WarpLoadAlgorithmE2EdEvPT3_S3_,"axG",@progbits,_Z16warp_load_kernelILj256ELj32ELj32ELN6hipcub17WarpLoadAlgorithmE2EdEvPT3_S3_,comdat
	.protected	_Z16warp_load_kernelILj256ELj32ELj32ELN6hipcub17WarpLoadAlgorithmE2EdEvPT3_S3_ ; -- Begin function _Z16warp_load_kernelILj256ELj32ELj32ELN6hipcub17WarpLoadAlgorithmE2EdEvPT3_S3_
	.globl	_Z16warp_load_kernelILj256ELj32ELj32ELN6hipcub17WarpLoadAlgorithmE2EdEvPT3_S3_
	.p2align	8
	.type	_Z16warp_load_kernelILj256ELj32ELj32ELN6hipcub17WarpLoadAlgorithmE2EdEvPT3_S3_,@function
_Z16warp_load_kernelILj256ELj32ELj32ELN6hipcub17WarpLoadAlgorithmE2EdEvPT3_S3_: ; @_Z16warp_load_kernelILj256ELj32ELj32ELN6hipcub17WarpLoadAlgorithmE2EdEvPT3_S3_
; %bb.0:
	s_load_dwordx4 s[4:7], s[0:1], 0x0
	v_mbcnt_lo_u32_b32 v1, -1, 0
	v_lshlrev_b32_e32 v2, 5, v0
	v_mbcnt_hi_u32_b32 v1, -1, v1
	s_lshl_b32 s0, s2, 13
	v_and_b32_e32 v2, 0x1c00, v2
	s_waitcnt lgkmcnt(0)
	v_mov_b32_e32 v4, s4
	v_mov_b32_e32 v5, s5
	v_or_b32_e32 v2, s0, v2
	v_mov_b32_e32 v3, 0
	v_lshlrev_b32_e32 v1, 8, v1
	v_lshl_add_u64 v[4:5], v[2:3], 3, v[4:5]
	v_and_b32_e32 v2, 0x1f00, v1
	v_lshl_add_u64 v[68:69], v[4:5], 0, v[2:3]
	global_load_dwordx4 v[4:7], v[68:69], off
	global_load_dwordx4 v[8:11], v[68:69], off offset:16
	global_load_dwordx4 v[12:15], v[68:69], off offset:32
	;; [unrolled: 1-line block ×15, first 2 shown]
	v_or_b32_e32 v2, s0, v0
	v_mov_b32_e32 v1, v3
	v_or_b32_e32 v0, 0x200, v2
	v_mov_b32_e32 v71, v3
	v_mov_b32_e32 v73, v3
	;; [unrolled: 1-line block ×12, first 2 shown]
	v_lshl_add_u64 v[68:69], v[2:3], 3, s[6:7]
	v_or_b32_e32 v70, 0x300, v2
	v_or_b32_e32 v72, 0x400, v2
	;; [unrolled: 1-line block ×13, first 2 shown]
	v_lshl_add_u64 v[0:1], v[0:1], 3, s[6:7]
	v_mov_b32_e32 v95, v3
	v_lshl_add_u64 v[70:71], v[70:71], 3, s[6:7]
	v_lshl_add_u64 v[72:73], v[72:73], 3, s[6:7]
	;; [unrolled: 1-line block ×12, first 2 shown]
	s_waitcnt vmcnt(15)
	global_store_dwordx2 v[68:69], v[4:5], off
	global_store_dwordx2 v[68:69], v[6:7], off offset:2048
	s_waitcnt vmcnt(16)
	global_store_dwordx2 v[0:1], v[8:9], off
	global_store_dwordx2 v[70:71], v[10:11], off
	s_waitcnt vmcnt(17)
	global_store_dwordx2 v[72:73], v[12:13], off
	global_store_dwordx2 v[74:75], v[14:15], off
	;; [unrolled: 3-line block ×6, first 2 shown]
	s_waitcnt vmcnt(22)
	global_store_dwordx2 v[92:93], v[32:33], off
	v_lshl_add_u64 v[0:1], v[94:95], 3, s[6:7]
	global_store_dwordx2 v[0:1], v[34:35], off
	v_or_b32_e32 v0, 0x1000, v2
	v_mov_b32_e32 v1, v3
	v_lshl_add_u64 v[0:1], v[0:1], 3, s[6:7]
	s_waitcnt vmcnt(23)
	global_store_dwordx2 v[0:1], v[36:37], off
	v_or_b32_e32 v0, 0x1100, v2
	v_mov_b32_e32 v1, v3
	v_lshl_add_u64 v[0:1], v[0:1], 3, s[6:7]
	global_store_dwordx2 v[0:1], v[38:39], off
	v_or_b32_e32 v0, 0x1200, v2
	v_mov_b32_e32 v1, v3
	v_lshl_add_u64 v[0:1], v[0:1], 3, s[6:7]
	s_waitcnt vmcnt(24)
	global_store_dwordx2 v[0:1], v[40:41], off
	v_or_b32_e32 v0, 0x1300, v2
	v_mov_b32_e32 v1, v3
	;; [unrolled: 9-line block ×3, first 2 shown]
	v_lshl_add_u64 v[0:1], v[0:1], 3, s[6:7]
	global_store_dwordx2 v[0:1], v[50:51], off
	v_or_b32_e32 v0, 0x1600, v2
	v_mov_b32_e32 v1, v3
	v_lshl_add_u64 v[0:1], v[0:1], 3, s[6:7]
	global_store_dwordx2 v[0:1], v[44:45], off
	v_or_b32_e32 v0, 0x1700, v2
	v_mov_b32_e32 v1, v3
	;; [unrolled: 4-line block ×3, first 2 shown]
	v_lshl_add_u64 v[0:1], v[0:1], 3, s[6:7]
	s_waitcnt vmcnt(24)
	global_store_dwordx2 v[0:1], v[64:65], off
	v_or_b32_e32 v0, 0x1900, v2
	v_mov_b32_e32 v1, v3
	v_lshl_add_u64 v[0:1], v[0:1], 3, s[6:7]
	global_store_dwordx2 v[0:1], v[66:67], off
	v_or_b32_e32 v0, 0x1a00, v2
	v_mov_b32_e32 v1, v3
	v_lshl_add_u64 v[0:1], v[0:1], 3, s[6:7]
	;; [unrolled: 4-line block ×6, first 2 shown]
	v_or_b32_e32 v2, 0x1f00, v2
	global_store_dwordx2 v[0:1], v[52:53], off
	v_lshl_add_u64 v[0:1], v[2:3], 3, s[6:7]
	global_store_dwordx2 v[0:1], v[54:55], off
	s_endpgm
	.section	.rodata,"a",@progbits
	.p2align	6, 0x0
	.amdhsa_kernel _Z16warp_load_kernelILj256ELj32ELj32ELN6hipcub17WarpLoadAlgorithmE2EdEvPT3_S3_
		.amdhsa_group_segment_fixed_size 0
		.amdhsa_private_segment_fixed_size 0
		.amdhsa_kernarg_size 16
		.amdhsa_user_sgpr_count 2
		.amdhsa_user_sgpr_dispatch_ptr 0
		.amdhsa_user_sgpr_queue_ptr 0
		.amdhsa_user_sgpr_kernarg_segment_ptr 1
		.amdhsa_user_sgpr_dispatch_id 0
		.amdhsa_user_sgpr_kernarg_preload_length 0
		.amdhsa_user_sgpr_kernarg_preload_offset 0
		.amdhsa_user_sgpr_private_segment_size 0
		.amdhsa_uses_dynamic_stack 0
		.amdhsa_enable_private_segment 0
		.amdhsa_system_sgpr_workgroup_id_x 1
		.amdhsa_system_sgpr_workgroup_id_y 0
		.amdhsa_system_sgpr_workgroup_id_z 0
		.amdhsa_system_sgpr_workgroup_info 0
		.amdhsa_system_vgpr_workitem_id 0
		.amdhsa_next_free_vgpr 96
		.amdhsa_next_free_sgpr 8
		.amdhsa_accum_offset 96
		.amdhsa_reserve_vcc 0
		.amdhsa_float_round_mode_32 0
		.amdhsa_float_round_mode_16_64 0
		.amdhsa_float_denorm_mode_32 3
		.amdhsa_float_denorm_mode_16_64 3
		.amdhsa_dx10_clamp 1
		.amdhsa_ieee_mode 1
		.amdhsa_fp16_overflow 0
		.amdhsa_tg_split 0
		.amdhsa_exception_fp_ieee_invalid_op 0
		.amdhsa_exception_fp_denorm_src 0
		.amdhsa_exception_fp_ieee_div_zero 0
		.amdhsa_exception_fp_ieee_overflow 0
		.amdhsa_exception_fp_ieee_underflow 0
		.amdhsa_exception_fp_ieee_inexact 0
		.amdhsa_exception_int_div_zero 0
	.end_amdhsa_kernel
	.section	.text._Z16warp_load_kernelILj256ELj32ELj32ELN6hipcub17WarpLoadAlgorithmE2EdEvPT3_S3_,"axG",@progbits,_Z16warp_load_kernelILj256ELj32ELj32ELN6hipcub17WarpLoadAlgorithmE2EdEvPT3_S3_,comdat
.Lfunc_end33:
	.size	_Z16warp_load_kernelILj256ELj32ELj32ELN6hipcub17WarpLoadAlgorithmE2EdEvPT3_S3_, .Lfunc_end33-_Z16warp_load_kernelILj256ELj32ELj32ELN6hipcub17WarpLoadAlgorithmE2EdEvPT3_S3_
                                        ; -- End function
	.section	.AMDGPU.csdata,"",@progbits
; Kernel info:
; codeLenInByte = 1132
; NumSgprs: 14
; NumVgprs: 96
; NumAgprs: 0
; TotalNumVgprs: 96
; ScratchSize: 0
; MemoryBound: 1
; FloatMode: 240
; IeeeMode: 1
; LDSByteSize: 0 bytes/workgroup (compile time only)
; SGPRBlocks: 1
; VGPRBlocks: 11
; NumSGPRsForWavesPerEU: 14
; NumVGPRsForWavesPerEU: 96
; AccumOffset: 96
; Occupancy: 5
; WaveLimiterHint : 1
; COMPUTE_PGM_RSRC2:SCRATCH_EN: 0
; COMPUTE_PGM_RSRC2:USER_SGPR: 2
; COMPUTE_PGM_RSRC2:TRAP_HANDLER: 0
; COMPUTE_PGM_RSRC2:TGID_X_EN: 1
; COMPUTE_PGM_RSRC2:TGID_Y_EN: 0
; COMPUTE_PGM_RSRC2:TGID_Z_EN: 0
; COMPUTE_PGM_RSRC2:TIDIG_COMP_CNT: 0
; COMPUTE_PGM_RSRC3_GFX90A:ACCUM_OFFSET: 23
; COMPUTE_PGM_RSRC3_GFX90A:TG_SPLIT: 0
	.section	.text._Z16warp_load_kernelILj256ELj64ELj32ELN6hipcub17WarpLoadAlgorithmE0EdEvPT3_S3_,"axG",@progbits,_Z16warp_load_kernelILj256ELj64ELj32ELN6hipcub17WarpLoadAlgorithmE0EdEvPT3_S3_,comdat
	.protected	_Z16warp_load_kernelILj256ELj64ELj32ELN6hipcub17WarpLoadAlgorithmE0EdEvPT3_S3_ ; -- Begin function _Z16warp_load_kernelILj256ELj64ELj32ELN6hipcub17WarpLoadAlgorithmE0EdEvPT3_S3_
	.globl	_Z16warp_load_kernelILj256ELj64ELj32ELN6hipcub17WarpLoadAlgorithmE0EdEvPT3_S3_
	.p2align	8
	.type	_Z16warp_load_kernelILj256ELj64ELj32ELN6hipcub17WarpLoadAlgorithmE0EdEvPT3_S3_,@function
_Z16warp_load_kernelILj256ELj64ELj32ELN6hipcub17WarpLoadAlgorithmE0EdEvPT3_S3_: ; @_Z16warp_load_kernelILj256ELj64ELj32ELN6hipcub17WarpLoadAlgorithmE0EdEvPT3_S3_
; %bb.0:
	s_load_dwordx4 s[4:7], s[0:1], 0x0
	v_mbcnt_lo_u32_b32 v1, -1, 0
	v_lshlrev_b32_e32 v2, 6, v0
	v_mbcnt_hi_u32_b32 v1, -1, v1
	s_lshl_b32 s0, s2, 14
	v_and_b32_e32 v2, 0x3800, v2
	s_waitcnt lgkmcnt(0)
	v_mov_b32_e32 v4, s4
	v_mov_b32_e32 v5, s5
	v_or_b32_e32 v2, s0, v2
	v_mov_b32_e32 v3, 0
	v_lshlrev_b32_e32 v1, 9, v1
	v_lshl_add_u64 v[4:5], v[2:3], 3, v[4:5]
	v_and_b32_e32 v2, 0x3e00, v1
	v_lshl_add_u64 v[4:5], v[4:5], 0, v[2:3]
	global_load_dwordx4 v[6:9], v[4:5], off
	global_load_dwordx4 v[10:13], v[4:5], off offset:16
	global_load_dwordx4 v[14:17], v[4:5], off offset:32
	;; [unrolled: 1-line block ×31, first 2 shown]
	v_or_b32_e32 v2, s0, v0
	v_mov_b32_e32 v1, v3
	v_or_b32_e32 v0, 0x200, v2
	v_mov_b32_e32 v135, v3
	v_mov_b32_e32 v137, v3
	;; [unrolled: 1-line block ×8, first 2 shown]
	v_lshl_add_u64 v[4:5], v[2:3], 3, s[6:7]
	v_or_b32_e32 v134, 0x300, v2
	v_or_b32_e32 v136, 0x400, v2
	;; [unrolled: 1-line block ×9, first 2 shown]
	v_lshl_add_u64 v[0:1], v[0:1], 3, s[6:7]
	v_mov_b32_e32 v151, v3
	v_lshl_add_u64 v[134:135], v[134:135], 3, s[6:7]
	v_lshl_add_u64 v[136:137], v[136:137], 3, s[6:7]
	;; [unrolled: 1-line block ×8, first 2 shown]
	s_waitcnt vmcnt(31)
	global_store_dwordx2 v[4:5], v[6:7], off
	global_store_dwordx2 v[4:5], v[8:9], off offset:2048
	s_waitcnt vmcnt(32)
	global_store_dwordx2 v[0:1], v[10:11], off
	global_store_dwordx2 v[134:135], v[12:13], off
	s_waitcnt vmcnt(33)
	global_store_dwordx2 v[136:137], v[14:15], off
	global_store_dwordx2 v[138:139], v[16:17], off
	;; [unrolled: 3-line block ×4, first 2 shown]
	s_waitcnt vmcnt(36)
	global_store_dwordx2 v[148:149], v[26:27], off
	v_lshl_add_u64 v[0:1], v[150:151], 3, s[6:7]
	global_store_dwordx2 v[0:1], v[28:29], off
	v_or_b32_e32 v0, 0xc00, v2
	v_mov_b32_e32 v1, v3
	v_lshl_add_u64 v[0:1], v[0:1], 3, s[6:7]
	s_waitcnt vmcnt(37)
	global_store_dwordx2 v[0:1], v[30:31], off
	v_or_b32_e32 v0, 0xd00, v2
	v_mov_b32_e32 v1, v3
	v_lshl_add_u64 v[0:1], v[0:1], 3, s[6:7]
	global_store_dwordx2 v[0:1], v[32:33], off
	v_or_b32_e32 v0, 0xe00, v2
	v_mov_b32_e32 v1, v3
	v_lshl_add_u64 v[0:1], v[0:1], 3, s[6:7]
	s_waitcnt vmcnt(38)
	global_store_dwordx2 v[0:1], v[34:35], off
	v_or_b32_e32 v0, 0xf00, v2
	v_mov_b32_e32 v1, v3
	;; [unrolled: 9-line block ×3, first 2 shown]
	v_lshl_add_u64 v[0:1], v[0:1], 3, s[6:7]
	global_store_dwordx2 v[0:1], v[44:45], off
	v_or_b32_e32 v0, 0x1200, v2
	v_mov_b32_e32 v1, v3
	v_lshl_add_u64 v[0:1], v[0:1], 3, s[6:7]
	global_store_dwordx2 v[0:1], v[38:39], off
	v_or_b32_e32 v0, 0x1300, v2
	v_mov_b32_e32 v1, v3
	;; [unrolled: 4-line block ×3, first 2 shown]
	v_lshl_add_u64 v[0:1], v[0:1], 3, s[6:7]
	s_waitcnt vmcnt(40)
	global_store_dwordx2 v[0:1], v[50:51], off
	v_or_b32_e32 v0, 0x1500, v2
	v_mov_b32_e32 v1, v3
	v_lshl_add_u64 v[0:1], v[0:1], 3, s[6:7]
	global_store_dwordx2 v[0:1], v[52:53], off
	v_or_b32_e32 v0, 0x1600, v2
	v_mov_b32_e32 v1, v3
	v_lshl_add_u64 v[0:1], v[0:1], 3, s[6:7]
	global_store_dwordx2 v[0:1], v[46:47], off
	v_or_b32_e32 v0, 0x1700, v2
	v_mov_b32_e32 v1, v3
	v_lshl_add_u64 v[0:1], v[0:1], 3, s[6:7]
	global_store_dwordx2 v[0:1], v[48:49], off
	v_or_b32_e32 v0, 0x1800, v2
	v_mov_b32_e32 v1, v3
	v_lshl_add_u64 v[0:1], v[0:1], 3, s[6:7]
	s_waitcnt vmcnt(40)
	global_store_dwordx2 v[0:1], v[66:67], off
	v_or_b32_e32 v0, 0x1900, v2
	v_mov_b32_e32 v1, v3
	v_lshl_add_u64 v[0:1], v[0:1], 3, s[6:7]
	global_store_dwordx2 v[0:1], v[68:69], off
	v_or_b32_e32 v0, 0x1a00, v2
	v_mov_b32_e32 v1, v3
	v_lshl_add_u64 v[0:1], v[0:1], 3, s[6:7]
	global_store_dwordx2 v[0:1], v[62:63], off
	v_or_b32_e32 v0, 0x1b00, v2
	v_mov_b32_e32 v1, v3
	v_lshl_add_u64 v[0:1], v[0:1], 3, s[6:7]
	global_store_dwordx2 v[0:1], v[64:65], off
	v_or_b32_e32 v0, 0x1c00, v2
	v_mov_b32_e32 v1, v3
	v_lshl_add_u64 v[0:1], v[0:1], 3, s[6:7]
	global_store_dwordx2 v[0:1], v[58:59], off
	v_or_b32_e32 v0, 0x1d00, v2
	v_mov_b32_e32 v1, v3
	v_lshl_add_u64 v[0:1], v[0:1], 3, s[6:7]
	global_store_dwordx2 v[0:1], v[60:61], off
	v_or_b32_e32 v0, 0x1e00, v2
	v_mov_b32_e32 v1, v3
	v_lshl_add_u64 v[0:1], v[0:1], 3, s[6:7]
	global_store_dwordx2 v[0:1], v[54:55], off
	v_or_b32_e32 v0, 0x1f00, v2
	v_mov_b32_e32 v1, v3
	v_lshl_add_u64 v[0:1], v[0:1], 3, s[6:7]
	global_store_dwordx2 v[0:1], v[56:57], off
	v_or_b32_e32 v0, 0x2000, v2
	v_mov_b32_e32 v1, v3
	v_lshl_add_u64 v[0:1], v[0:1], 3, s[6:7]
	s_waitcnt vmcnt(44)
	global_store_dwordx2 v[0:1], v[82:83], off
	v_or_b32_e32 v0, 0x2100, v2
	v_mov_b32_e32 v1, v3
	v_lshl_add_u64 v[0:1], v[0:1], 3, s[6:7]
	global_store_dwordx2 v[0:1], v[84:85], off
	v_or_b32_e32 v0, 0x2200, v2
	v_mov_b32_e32 v1, v3
	v_lshl_add_u64 v[0:1], v[0:1], 3, s[6:7]
	global_store_dwordx2 v[0:1], v[78:79], off
	v_or_b32_e32 v0, 0x2300, v2
	v_mov_b32_e32 v1, v3
	v_lshl_add_u64 v[0:1], v[0:1], 3, s[6:7]
	global_store_dwordx2 v[0:1], v[80:81], off
	v_or_b32_e32 v0, 0x2400, v2
	v_mov_b32_e32 v1, v3
	v_lshl_add_u64 v[0:1], v[0:1], 3, s[6:7]
	;; [unrolled: 33-line block ×5, first 2 shown]
	global_store_dwordx2 v[0:1], v[122:123], off
	v_or_b32_e32 v0, 0x3d00, v2
	v_mov_b32_e32 v1, v3
	v_lshl_add_u64 v[0:1], v[0:1], 3, s[6:7]
	global_store_dwordx2 v[0:1], v[124:125], off
	v_or_b32_e32 v0, 0x3e00, v2
	v_mov_b32_e32 v1, v3
	v_lshl_add_u64 v[0:1], v[0:1], 3, s[6:7]
	v_or_b32_e32 v2, 0x3f00, v2
	global_store_dwordx2 v[0:1], v[118:119], off
	v_lshl_add_u64 v[0:1], v[2:3], 3, s[6:7]
	global_store_dwordx2 v[0:1], v[120:121], off
	s_endpgm
	.section	.rodata,"a",@progbits
	.p2align	6, 0x0
	.amdhsa_kernel _Z16warp_load_kernelILj256ELj64ELj32ELN6hipcub17WarpLoadAlgorithmE0EdEvPT3_S3_
		.amdhsa_group_segment_fixed_size 0
		.amdhsa_private_segment_fixed_size 0
		.amdhsa_kernarg_size 16
		.amdhsa_user_sgpr_count 2
		.amdhsa_user_sgpr_dispatch_ptr 0
		.amdhsa_user_sgpr_queue_ptr 0
		.amdhsa_user_sgpr_kernarg_segment_ptr 1
		.amdhsa_user_sgpr_dispatch_id 0
		.amdhsa_user_sgpr_kernarg_preload_length 0
		.amdhsa_user_sgpr_kernarg_preload_offset 0
		.amdhsa_user_sgpr_private_segment_size 0
		.amdhsa_uses_dynamic_stack 0
		.amdhsa_enable_private_segment 0
		.amdhsa_system_sgpr_workgroup_id_x 1
		.amdhsa_system_sgpr_workgroup_id_y 0
		.amdhsa_system_sgpr_workgroup_id_z 0
		.amdhsa_system_sgpr_workgroup_info 0
		.amdhsa_system_vgpr_workitem_id 0
		.amdhsa_next_free_vgpr 152
		.amdhsa_next_free_sgpr 8
		.amdhsa_accum_offset 152
		.amdhsa_reserve_vcc 0
		.amdhsa_float_round_mode_32 0
		.amdhsa_float_round_mode_16_64 0
		.amdhsa_float_denorm_mode_32 3
		.amdhsa_float_denorm_mode_16_64 3
		.amdhsa_dx10_clamp 1
		.amdhsa_ieee_mode 1
		.amdhsa_fp16_overflow 0
		.amdhsa_tg_split 0
		.amdhsa_exception_fp_ieee_invalid_op 0
		.amdhsa_exception_fp_denorm_src 0
		.amdhsa_exception_fp_ieee_div_zero 0
		.amdhsa_exception_fp_ieee_overflow 0
		.amdhsa_exception_fp_ieee_underflow 0
		.amdhsa_exception_fp_ieee_inexact 0
		.amdhsa_exception_int_div_zero 0
	.end_amdhsa_kernel
	.section	.text._Z16warp_load_kernelILj256ELj64ELj32ELN6hipcub17WarpLoadAlgorithmE0EdEvPT3_S3_,"axG",@progbits,_Z16warp_load_kernelILj256ELj64ELj32ELN6hipcub17WarpLoadAlgorithmE0EdEvPT3_S3_,comdat
.Lfunc_end34:
	.size	_Z16warp_load_kernelILj256ELj64ELj32ELN6hipcub17WarpLoadAlgorithmE0EdEvPT3_S3_, .Lfunc_end34-_Z16warp_load_kernelILj256ELj64ELj32ELN6hipcub17WarpLoadAlgorithmE0EdEvPT3_S3_
                                        ; -- End function
	.section	.AMDGPU.csdata,"",@progbits
; Kernel info:
; codeLenInByte = 2168
; NumSgprs: 14
; NumVgprs: 152
; NumAgprs: 0
; TotalNumVgprs: 152
; ScratchSize: 0
; MemoryBound: 1
; FloatMode: 240
; IeeeMode: 1
; LDSByteSize: 0 bytes/workgroup (compile time only)
; SGPRBlocks: 1
; VGPRBlocks: 18
; NumSGPRsForWavesPerEU: 14
; NumVGPRsForWavesPerEU: 152
; AccumOffset: 152
; Occupancy: 3
; WaveLimiterHint : 1
; COMPUTE_PGM_RSRC2:SCRATCH_EN: 0
; COMPUTE_PGM_RSRC2:USER_SGPR: 2
; COMPUTE_PGM_RSRC2:TRAP_HANDLER: 0
; COMPUTE_PGM_RSRC2:TGID_X_EN: 1
; COMPUTE_PGM_RSRC2:TGID_Y_EN: 0
; COMPUTE_PGM_RSRC2:TGID_Z_EN: 0
; COMPUTE_PGM_RSRC2:TIDIG_COMP_CNT: 0
; COMPUTE_PGM_RSRC3_GFX90A:ACCUM_OFFSET: 37
; COMPUTE_PGM_RSRC3_GFX90A:TG_SPLIT: 0
	.section	.text._Z16warp_load_kernelILj256ELj64ELj32ELN6hipcub17WarpLoadAlgorithmE1EdEvPT3_S3_,"axG",@progbits,_Z16warp_load_kernelILj256ELj64ELj32ELN6hipcub17WarpLoadAlgorithmE1EdEvPT3_S3_,comdat
	.protected	_Z16warp_load_kernelILj256ELj64ELj32ELN6hipcub17WarpLoadAlgorithmE1EdEvPT3_S3_ ; -- Begin function _Z16warp_load_kernelILj256ELj64ELj32ELN6hipcub17WarpLoadAlgorithmE1EdEvPT3_S3_
	.globl	_Z16warp_load_kernelILj256ELj64ELj32ELN6hipcub17WarpLoadAlgorithmE1EdEvPT3_S3_
	.p2align	8
	.type	_Z16warp_load_kernelILj256ELj64ELj32ELN6hipcub17WarpLoadAlgorithmE1EdEvPT3_S3_,@function
_Z16warp_load_kernelILj256ELj64ELj32ELN6hipcub17WarpLoadAlgorithmE1EdEvPT3_S3_: ; @_Z16warp_load_kernelILj256ELj64ELj32ELN6hipcub17WarpLoadAlgorithmE1EdEvPT3_S3_
; %bb.0:
	s_load_dwordx4 s[4:7], s[0:1], 0x0
	v_mbcnt_lo_u32_b32 v1, -1, 0
	v_lshlrev_b32_e32 v2, 6, v0
	v_mbcnt_hi_u32_b32 v1, -1, v1
	s_lshl_b32 s0, s2, 14
	v_and_b32_e32 v2, 0x3800, v2
	s_waitcnt lgkmcnt(0)
	v_mov_b32_e32 v4, s4
	v_mov_b32_e32 v5, s5
	v_and_b32_e32 v1, 31, v1
	v_or_b32_e32 v2, s0, v2
	v_mov_b32_e32 v3, 0
	v_lshl_add_u64 v[4:5], v[2:3], 3, v[4:5]
	v_lshlrev_b32_e32 v2, 3, v1
	v_lshl_add_u64 v[4:5], v[4:5], 0, v[2:3]
	global_load_dwordx2 v[38:39], v[4:5], off
	global_load_dwordx2 v[40:41], v[4:5], off offset:256
	global_load_dwordx2 v[42:43], v[4:5], off offset:512
	;; [unrolled: 1-line block ×15, first 2 shown]
	s_movk_i32 s1, 0x1000
	v_add_co_u32_e32 v6, vcc, s1, v4
	s_movk_i32 s1, 0x2000
	s_nop 0
	v_addc_co_u32_e32 v7, vcc, 0, v5, vcc
	v_add_co_u32_e32 v8, vcc, s1, v4
	s_movk_i32 s1, 0x3000
	s_nop 0
	v_addc_co_u32_e32 v9, vcc, 0, v5, vcc
	global_load_dwordx2 v[70:71], v[8:9], off offset:-4096
	global_load_dwordx2 v[72:73], v[8:9], off
	global_load_dwordx2 v[74:75], v[8:9], off offset:256
	global_load_dwordx2 v[76:77], v[8:9], off offset:512
	;; [unrolled: 1-line block ×3, first 2 shown]
	v_add_co_u32_e32 v80, vcc, s1, v4
	global_load_dwordx2 v[82:83], v[8:9], off offset:1024
	global_load_dwordx2 v[84:85], v[8:9], off offset:1280
	;; [unrolled: 1-line block ×4, first 2 shown]
	v_addc_co_u32_e32 v81, vcc, 0, v5, vcc
	v_or_b32_e32 v2, s0, v0
	global_load_dwordx2 v[90:91], v[8:9], off offset:2048
	global_load_dwordx2 v[92:93], v[8:9], off offset:2304
	;; [unrolled: 1-line block ×15, first 2 shown]
                                        ; kill: killed $vgpr8 killed $vgpr9
	global_load_dwordx2 v[114:115], v[6:7], off offset:2048
	global_load_dwordx2 v[116:117], v[6:7], off offset:2304
	;; [unrolled: 1-line block ×8, first 2 shown]
	global_load_dwordx2 v[130:131], v[80:81], off
	global_load_dwordx2 v[36:37], v[80:81], off offset:256
	global_load_dwordx2 v[32:33], v[80:81], off offset:512
	;; [unrolled: 1-line block ×6, first 2 shown]
                                        ; kill: killed $vgpr6 killed $vgpr7
	global_load_dwordx2 v[18:19], v[80:81], off offset:1792
	global_load_dwordx2 v[16:17], v[80:81], off offset:2048
	;; [unrolled: 1-line block ×9, first 2 shown]
	v_lshl_add_u64 v[80:81], v[2:3], 3, s[6:7]
	s_waitcnt vmcnt(62)
	global_store_dwordx2 v[80:81], v[38:39], off
	global_store_dwordx2 v[80:81], v[40:41], off offset:2048
	v_or_b32_e32 v38, 0x200, v2
	v_mov_b32_e32 v39, v3
	v_lshl_add_u64 v[38:39], v[38:39], 3, s[6:7]
	s_waitcnt vmcnt(62)
	global_store_dwordx2 v[38:39], v[42:43], off
	v_or_b32_e32 v38, 0x300, v2
	v_mov_b32_e32 v39, v3
	v_lshl_add_u64 v[38:39], v[38:39], 3, s[6:7]
	global_store_dwordx2 v[38:39], v[44:45], off
	v_or_b32_e32 v38, 0x400, v2
	v_mov_b32_e32 v39, v3
	v_lshl_add_u64 v[38:39], v[38:39], 3, s[6:7]
	s_waitcnt vmcnt(62)
	global_store_dwordx2 v[38:39], v[46:47], off
	v_or_b32_e32 v38, 0x500, v2
	v_mov_b32_e32 v39, v3
	v_lshl_add_u64 v[38:39], v[38:39], 3, s[6:7]
	global_store_dwordx2 v[38:39], v[48:49], off
	;; [unrolled: 9-line block ×7, first 2 shown]
	v_or_b32_e32 v38, 0x1000, v2
	v_mov_b32_e32 v39, v3
	v_lshl_add_u64 v[38:39], v[38:39], 3, s[6:7]
	s_waitcnt vmcnt(62)
	global_store_dwordx2 v[38:39], v[70:71], off
	v_or_b32_e32 v38, 0x1100, v2
	v_mov_b32_e32 v39, v3
	v_lshl_add_u64 v[38:39], v[38:39], 3, s[6:7]
	s_waitcnt vmcnt(47)
	global_store_dwordx2 v[38:39], v[100:101], off
	v_or_b32_e32 v38, 0x1200, v2
	v_mov_b32_e32 v39, v3
	v_lshl_add_u64 v[38:39], v[38:39], 3, s[6:7]
	s_waitcnt vmcnt(47)
	global_store_dwordx2 v[38:39], v[102:103], off
	v_or_b32_e32 v38, 0x1300, v2
	v_mov_b32_e32 v39, v3
	v_lshl_add_u64 v[38:39], v[38:39], 3, s[6:7]
	s_waitcnt vmcnt(47)
	global_store_dwordx2 v[38:39], v[104:105], off
	v_or_b32_e32 v38, 0x1400, v2
	v_mov_b32_e32 v39, v3
	v_lshl_add_u64 v[38:39], v[38:39], 3, s[6:7]
	s_waitcnt vmcnt(47)
	global_store_dwordx2 v[38:39], v[106:107], off
	v_or_b32_e32 v38, 0x1500, v2
	v_mov_b32_e32 v39, v3
	v_lshl_add_u64 v[38:39], v[38:39], 3, s[6:7]
	s_waitcnt vmcnt(47)
	global_store_dwordx2 v[38:39], v[108:109], off
	v_or_b32_e32 v38, 0x1600, v2
	v_mov_b32_e32 v39, v3
	v_lshl_add_u64 v[38:39], v[38:39], 3, s[6:7]
	s_waitcnt vmcnt(47)
	global_store_dwordx2 v[38:39], v[110:111], off
	v_or_b32_e32 v38, 0x1700, v2
	v_mov_b32_e32 v39, v3
	v_lshl_add_u64 v[38:39], v[38:39], 3, s[6:7]
	s_waitcnt vmcnt(47)
	global_store_dwordx2 v[38:39], v[112:113], off
	v_or_b32_e32 v38, 0x1800, v2
	v_mov_b32_e32 v39, v3
	v_lshl_add_u64 v[38:39], v[38:39], 3, s[6:7]
	s_waitcnt vmcnt(47)
	global_store_dwordx2 v[38:39], v[114:115], off
	v_or_b32_e32 v38, 0x1900, v2
	v_mov_b32_e32 v39, v3
	v_lshl_add_u64 v[38:39], v[38:39], 3, s[6:7]
	s_waitcnt vmcnt(47)
	global_store_dwordx2 v[38:39], v[116:117], off
	v_or_b32_e32 v38, 0x1a00, v2
	v_mov_b32_e32 v39, v3
	v_lshl_add_u64 v[38:39], v[38:39], 3, s[6:7]
	s_waitcnt vmcnt(47)
	global_store_dwordx2 v[38:39], v[118:119], off
	v_or_b32_e32 v38, 0x1b00, v2
	v_mov_b32_e32 v39, v3
	v_lshl_add_u64 v[38:39], v[38:39], 3, s[6:7]
	s_waitcnt vmcnt(47)
	global_store_dwordx2 v[38:39], v[120:121], off
	v_or_b32_e32 v38, 0x1c00, v2
	v_mov_b32_e32 v39, v3
	v_lshl_add_u64 v[38:39], v[38:39], 3, s[6:7]
	s_waitcnt vmcnt(47)
	global_store_dwordx2 v[38:39], v[122:123], off
	v_or_b32_e32 v38, 0x1d00, v2
	v_mov_b32_e32 v39, v3
	v_lshl_add_u64 v[38:39], v[38:39], 3, s[6:7]
	s_waitcnt vmcnt(47)
	global_store_dwordx2 v[38:39], v[124:125], off
	v_or_b32_e32 v38, 0x1e00, v2
	v_mov_b32_e32 v39, v3
	v_lshl_add_u64 v[38:39], v[38:39], 3, s[6:7]
	s_waitcnt vmcnt(47)
	global_store_dwordx2 v[38:39], v[126:127], off
	v_or_b32_e32 v38, 0x1f00, v2
	v_mov_b32_e32 v39, v3
	v_lshl_add_u64 v[38:39], v[38:39], 3, s[6:7]
	s_waitcnt vmcnt(47)
	global_store_dwordx2 v[38:39], v[128:129], off
	v_or_b32_e32 v38, 0x2000, v2
	v_mov_b32_e32 v39, v3
	v_lshl_add_u64 v[38:39], v[38:39], 3, s[6:7]
	global_store_dwordx2 v[38:39], v[72:73], off
	v_or_b32_e32 v38, 0x2100, v2
	v_mov_b32_e32 v39, v3
	v_lshl_add_u64 v[38:39], v[38:39], 3, s[6:7]
	global_store_dwordx2 v[38:39], v[74:75], off
	v_or_b32_e32 v38, 0x2200, v2
	v_mov_b32_e32 v39, v3
	v_lshl_add_u64 v[38:39], v[38:39], 3, s[6:7]
	global_store_dwordx2 v[38:39], v[76:77], off
	v_or_b32_e32 v38, 0x2300, v2
	v_mov_b32_e32 v39, v3
	v_lshl_add_u64 v[38:39], v[38:39], 3, s[6:7]
	global_store_dwordx2 v[38:39], v[78:79], off
	v_or_b32_e32 v38, 0x2400, v2
	v_mov_b32_e32 v39, v3
	v_lshl_add_u64 v[38:39], v[38:39], 3, s[6:7]
	global_store_dwordx2 v[38:39], v[82:83], off
	v_or_b32_e32 v38, 0x2500, v2
	v_mov_b32_e32 v39, v3
	v_lshl_add_u64 v[38:39], v[38:39], 3, s[6:7]
	global_store_dwordx2 v[38:39], v[84:85], off
	v_or_b32_e32 v38, 0x2600, v2
	v_mov_b32_e32 v39, v3
	v_lshl_add_u64 v[38:39], v[38:39], 3, s[6:7]
	global_store_dwordx2 v[38:39], v[86:87], off
	v_or_b32_e32 v38, 0x2700, v2
	v_mov_b32_e32 v39, v3
	v_lshl_add_u64 v[38:39], v[38:39], 3, s[6:7]
	global_store_dwordx2 v[38:39], v[88:89], off
	v_or_b32_e32 v38, 0x2800, v2
	v_mov_b32_e32 v39, v3
	v_lshl_add_u64 v[38:39], v[38:39], 3, s[6:7]
	global_store_dwordx2 v[38:39], v[90:91], off
	v_or_b32_e32 v38, 0x2900, v2
	v_mov_b32_e32 v39, v3
	v_lshl_add_u64 v[38:39], v[38:39], 3, s[6:7]
	global_store_dwordx2 v[38:39], v[92:93], off
	v_or_b32_e32 v38, 0x2a00, v2
	v_mov_b32_e32 v39, v3
	v_lshl_add_u64 v[38:39], v[38:39], 3, s[6:7]
	global_store_dwordx2 v[38:39], v[94:95], off
	v_or_b32_e32 v38, 0x2b00, v2
	v_mov_b32_e32 v39, v3
	v_lshl_add_u64 v[38:39], v[38:39], 3, s[6:7]
	global_store_dwordx2 v[38:39], v[96:97], off
	v_or_b32_e32 v38, 0x2c00, v2
	v_mov_b32_e32 v39, v3
	v_lshl_add_u64 v[38:39], v[38:39], 3, s[6:7]
	global_store_dwordx2 v[38:39], v[98:99], off
	v_or_b32_e32 v38, 0x2d00, v2
	v_mov_b32_e32 v39, v3
	v_lshl_add_u64 v[38:39], v[38:39], 3, s[6:7]
	global_store_dwordx2 v[38:39], v[34:35], off
	v_or_b32_e32 v34, 0x2e00, v2
	v_mov_b32_e32 v35, v3
	v_lshl_add_u64 v[34:35], v[34:35], 3, s[6:7]
	global_store_dwordx2 v[34:35], v[30:31], off
	v_or_b32_e32 v30, 0x2f00, v2
	v_mov_b32_e32 v31, v3
	v_lshl_add_u64 v[30:31], v[30:31], 3, s[6:7]
	global_store_dwordx2 v[30:31], v[26:27], off
	v_or_b32_e32 v26, 0x3000, v2
	v_mov_b32_e32 v27, v3
	v_lshl_add_u64 v[26:27], v[26:27], 3, s[6:7]
	s_waitcnt vmcnt(62)
	global_store_dwordx2 v[26:27], v[130:131], off
	v_or_b32_e32 v26, 0x3100, v2
	v_mov_b32_e32 v27, v3
	v_lshl_add_u64 v[26:27], v[26:27], 3, s[6:7]
	global_store_dwordx2 v[26:27], v[36:37], off
	v_or_b32_e32 v26, 0x3200, v2
	v_mov_b32_e32 v27, v3
	v_lshl_add_u64 v[26:27], v[26:27], 3, s[6:7]
	s_waitcnt vmcnt(62)
	global_store_dwordx2 v[26:27], v[32:33], off
	v_or_b32_e32 v26, 0x3300, v2
	v_mov_b32_e32 v27, v3
	v_lshl_add_u64 v[26:27], v[26:27], 3, s[6:7]
	global_store_dwordx2 v[26:27], v[28:29], off
	;; [unrolled: 9-line block ×7, first 2 shown]
	v_or_b32_e32 v6, 0x3e00, v2
	v_mov_b32_e32 v7, v3
	v_or_b32_e32 v2, 0x3f00, v2
	v_lshl_add_u64 v[6:7], v[6:7], 3, s[6:7]
	v_lshl_add_u64 v[2:3], v[2:3], 3, s[6:7]
	s_waitcnt vmcnt(62)
	global_store_dwordx2 v[6:7], v[4:5], off
	global_store_dwordx2 v[2:3], v[0:1], off
	s_endpgm
	.section	.rodata,"a",@progbits
	.p2align	6, 0x0
	.amdhsa_kernel _Z16warp_load_kernelILj256ELj64ELj32ELN6hipcub17WarpLoadAlgorithmE1EdEvPT3_S3_
		.amdhsa_group_segment_fixed_size 0
		.amdhsa_private_segment_fixed_size 0
		.amdhsa_kernarg_size 16
		.amdhsa_user_sgpr_count 2
		.amdhsa_user_sgpr_dispatch_ptr 0
		.amdhsa_user_sgpr_queue_ptr 0
		.amdhsa_user_sgpr_kernarg_segment_ptr 1
		.amdhsa_user_sgpr_dispatch_id 0
		.amdhsa_user_sgpr_kernarg_preload_length 0
		.amdhsa_user_sgpr_kernarg_preload_offset 0
		.amdhsa_user_sgpr_private_segment_size 0
		.amdhsa_uses_dynamic_stack 0
		.amdhsa_enable_private_segment 0
		.amdhsa_system_sgpr_workgroup_id_x 1
		.amdhsa_system_sgpr_workgroup_id_y 0
		.amdhsa_system_sgpr_workgroup_id_z 0
		.amdhsa_system_sgpr_workgroup_info 0
		.amdhsa_system_vgpr_workitem_id 0
		.amdhsa_next_free_vgpr 132
		.amdhsa_next_free_sgpr 8
		.amdhsa_accum_offset 132
		.amdhsa_reserve_vcc 1
		.amdhsa_float_round_mode_32 0
		.amdhsa_float_round_mode_16_64 0
		.amdhsa_float_denorm_mode_32 3
		.amdhsa_float_denorm_mode_16_64 3
		.amdhsa_dx10_clamp 1
		.amdhsa_ieee_mode 1
		.amdhsa_fp16_overflow 0
		.amdhsa_tg_split 0
		.amdhsa_exception_fp_ieee_invalid_op 0
		.amdhsa_exception_fp_denorm_src 0
		.amdhsa_exception_fp_ieee_div_zero 0
		.amdhsa_exception_fp_ieee_overflow 0
		.amdhsa_exception_fp_ieee_underflow 0
		.amdhsa_exception_fp_ieee_inexact 0
		.amdhsa_exception_int_div_zero 0
	.end_amdhsa_kernel
	.section	.text._Z16warp_load_kernelILj256ELj64ELj32ELN6hipcub17WarpLoadAlgorithmE1EdEvPT3_S3_,"axG",@progbits,_Z16warp_load_kernelILj256ELj64ELj32ELN6hipcub17WarpLoadAlgorithmE1EdEvPT3_S3_,comdat
.Lfunc_end35:
	.size	_Z16warp_load_kernelILj256ELj64ELj32ELN6hipcub17WarpLoadAlgorithmE1EdEvPT3_S3_, .Lfunc_end35-_Z16warp_load_kernelILj256ELj64ELj32ELN6hipcub17WarpLoadAlgorithmE1EdEvPT3_S3_
                                        ; -- End function
	.section	.AMDGPU.csdata,"",@progbits
; Kernel info:
; codeLenInByte = 2532
; NumSgprs: 14
; NumVgprs: 132
; NumAgprs: 0
; TotalNumVgprs: 132
; ScratchSize: 0
; MemoryBound: 1
; FloatMode: 240
; IeeeMode: 1
; LDSByteSize: 0 bytes/workgroup (compile time only)
; SGPRBlocks: 1
; VGPRBlocks: 16
; NumSGPRsForWavesPerEU: 14
; NumVGPRsForWavesPerEU: 132
; AccumOffset: 132
; Occupancy: 3
; WaveLimiterHint : 1
; COMPUTE_PGM_RSRC2:SCRATCH_EN: 0
; COMPUTE_PGM_RSRC2:USER_SGPR: 2
; COMPUTE_PGM_RSRC2:TRAP_HANDLER: 0
; COMPUTE_PGM_RSRC2:TGID_X_EN: 1
; COMPUTE_PGM_RSRC2:TGID_Y_EN: 0
; COMPUTE_PGM_RSRC2:TGID_Z_EN: 0
; COMPUTE_PGM_RSRC2:TIDIG_COMP_CNT: 0
; COMPUTE_PGM_RSRC3_GFX90A:ACCUM_OFFSET: 32
; COMPUTE_PGM_RSRC3_GFX90A:TG_SPLIT: 0
	.section	.text._Z16warp_load_kernelILj256ELj64ELj32ELN6hipcub17WarpLoadAlgorithmE2EdEvPT3_S3_,"axG",@progbits,_Z16warp_load_kernelILj256ELj64ELj32ELN6hipcub17WarpLoadAlgorithmE2EdEvPT3_S3_,comdat
	.protected	_Z16warp_load_kernelILj256ELj64ELj32ELN6hipcub17WarpLoadAlgorithmE2EdEvPT3_S3_ ; -- Begin function _Z16warp_load_kernelILj256ELj64ELj32ELN6hipcub17WarpLoadAlgorithmE2EdEvPT3_S3_
	.globl	_Z16warp_load_kernelILj256ELj64ELj32ELN6hipcub17WarpLoadAlgorithmE2EdEvPT3_S3_
	.p2align	8
	.type	_Z16warp_load_kernelILj256ELj64ELj32ELN6hipcub17WarpLoadAlgorithmE2EdEvPT3_S3_,@function
_Z16warp_load_kernelILj256ELj64ELj32ELN6hipcub17WarpLoadAlgorithmE2EdEvPT3_S3_: ; @_Z16warp_load_kernelILj256ELj64ELj32ELN6hipcub17WarpLoadAlgorithmE2EdEvPT3_S3_
; %bb.0:
	s_load_dwordx4 s[4:7], s[0:1], 0x0
	v_mbcnt_lo_u32_b32 v1, -1, 0
	v_lshlrev_b32_e32 v2, 6, v0
	v_mbcnt_hi_u32_b32 v1, -1, v1
	s_lshl_b32 s0, s2, 14
	v_and_b32_e32 v2, 0x3800, v2
	s_waitcnt lgkmcnt(0)
	v_mov_b32_e32 v4, s4
	v_mov_b32_e32 v5, s5
	v_or_b32_e32 v2, s0, v2
	v_mov_b32_e32 v3, 0
	v_lshlrev_b32_e32 v1, 9, v1
	v_lshl_add_u64 v[4:5], v[2:3], 3, v[4:5]
	v_and_b32_e32 v2, 0x3e00, v1
	v_lshl_add_u64 v[4:5], v[4:5], 0, v[2:3]
	global_load_dwordx4 v[6:9], v[4:5], off
	global_load_dwordx4 v[10:13], v[4:5], off offset:16
	global_load_dwordx4 v[14:17], v[4:5], off offset:32
	;; [unrolled: 1-line block ×31, first 2 shown]
	v_or_b32_e32 v2, s0, v0
	v_mov_b32_e32 v1, v3
	v_or_b32_e32 v0, 0x200, v2
	v_mov_b32_e32 v135, v3
	v_mov_b32_e32 v137, v3
	v_mov_b32_e32 v139, v3
	v_mov_b32_e32 v141, v3
	v_mov_b32_e32 v143, v3
	v_mov_b32_e32 v145, v3
	v_mov_b32_e32 v147, v3
	v_mov_b32_e32 v149, v3
	v_lshl_add_u64 v[4:5], v[2:3], 3, s[6:7]
	v_or_b32_e32 v134, 0x300, v2
	v_or_b32_e32 v136, 0x400, v2
	;; [unrolled: 1-line block ×9, first 2 shown]
	v_lshl_add_u64 v[0:1], v[0:1], 3, s[6:7]
	v_mov_b32_e32 v151, v3
	v_lshl_add_u64 v[134:135], v[134:135], 3, s[6:7]
	v_lshl_add_u64 v[136:137], v[136:137], 3, s[6:7]
	;; [unrolled: 1-line block ×8, first 2 shown]
	s_waitcnt vmcnt(31)
	global_store_dwordx2 v[4:5], v[6:7], off
	global_store_dwordx2 v[4:5], v[8:9], off offset:2048
	s_waitcnt vmcnt(32)
	global_store_dwordx2 v[0:1], v[10:11], off
	global_store_dwordx2 v[134:135], v[12:13], off
	s_waitcnt vmcnt(33)
	global_store_dwordx2 v[136:137], v[14:15], off
	global_store_dwordx2 v[138:139], v[16:17], off
	;; [unrolled: 3-line block ×4, first 2 shown]
	s_waitcnt vmcnt(36)
	global_store_dwordx2 v[148:149], v[26:27], off
	v_lshl_add_u64 v[0:1], v[150:151], 3, s[6:7]
	global_store_dwordx2 v[0:1], v[28:29], off
	v_or_b32_e32 v0, 0xc00, v2
	v_mov_b32_e32 v1, v3
	v_lshl_add_u64 v[0:1], v[0:1], 3, s[6:7]
	s_waitcnt vmcnt(37)
	global_store_dwordx2 v[0:1], v[30:31], off
	v_or_b32_e32 v0, 0xd00, v2
	v_mov_b32_e32 v1, v3
	v_lshl_add_u64 v[0:1], v[0:1], 3, s[6:7]
	global_store_dwordx2 v[0:1], v[32:33], off
	v_or_b32_e32 v0, 0xe00, v2
	v_mov_b32_e32 v1, v3
	v_lshl_add_u64 v[0:1], v[0:1], 3, s[6:7]
	s_waitcnt vmcnt(38)
	global_store_dwordx2 v[0:1], v[34:35], off
	v_or_b32_e32 v0, 0xf00, v2
	v_mov_b32_e32 v1, v3
	;; [unrolled: 9-line block ×3, first 2 shown]
	v_lshl_add_u64 v[0:1], v[0:1], 3, s[6:7]
	global_store_dwordx2 v[0:1], v[44:45], off
	v_or_b32_e32 v0, 0x1200, v2
	v_mov_b32_e32 v1, v3
	v_lshl_add_u64 v[0:1], v[0:1], 3, s[6:7]
	global_store_dwordx2 v[0:1], v[38:39], off
	v_or_b32_e32 v0, 0x1300, v2
	v_mov_b32_e32 v1, v3
	v_lshl_add_u64 v[0:1], v[0:1], 3, s[6:7]
	global_store_dwordx2 v[0:1], v[40:41], off
	v_or_b32_e32 v0, 0x1400, v2
	v_mov_b32_e32 v1, v3
	v_lshl_add_u64 v[0:1], v[0:1], 3, s[6:7]
	s_waitcnt vmcnt(40)
	global_store_dwordx2 v[0:1], v[50:51], off
	v_or_b32_e32 v0, 0x1500, v2
	v_mov_b32_e32 v1, v3
	v_lshl_add_u64 v[0:1], v[0:1], 3, s[6:7]
	global_store_dwordx2 v[0:1], v[52:53], off
	v_or_b32_e32 v0, 0x1600, v2
	v_mov_b32_e32 v1, v3
	v_lshl_add_u64 v[0:1], v[0:1], 3, s[6:7]
	global_store_dwordx2 v[0:1], v[46:47], off
	v_or_b32_e32 v0, 0x1700, v2
	v_mov_b32_e32 v1, v3
	v_lshl_add_u64 v[0:1], v[0:1], 3, s[6:7]
	global_store_dwordx2 v[0:1], v[48:49], off
	v_or_b32_e32 v0, 0x1800, v2
	v_mov_b32_e32 v1, v3
	v_lshl_add_u64 v[0:1], v[0:1], 3, s[6:7]
	s_waitcnt vmcnt(40)
	global_store_dwordx2 v[0:1], v[66:67], off
	v_or_b32_e32 v0, 0x1900, v2
	v_mov_b32_e32 v1, v3
	v_lshl_add_u64 v[0:1], v[0:1], 3, s[6:7]
	global_store_dwordx2 v[0:1], v[68:69], off
	v_or_b32_e32 v0, 0x1a00, v2
	v_mov_b32_e32 v1, v3
	v_lshl_add_u64 v[0:1], v[0:1], 3, s[6:7]
	global_store_dwordx2 v[0:1], v[62:63], off
	v_or_b32_e32 v0, 0x1b00, v2
	v_mov_b32_e32 v1, v3
	v_lshl_add_u64 v[0:1], v[0:1], 3, s[6:7]
	global_store_dwordx2 v[0:1], v[64:65], off
	v_or_b32_e32 v0, 0x1c00, v2
	v_mov_b32_e32 v1, v3
	v_lshl_add_u64 v[0:1], v[0:1], 3, s[6:7]
	global_store_dwordx2 v[0:1], v[58:59], off
	v_or_b32_e32 v0, 0x1d00, v2
	v_mov_b32_e32 v1, v3
	v_lshl_add_u64 v[0:1], v[0:1], 3, s[6:7]
	global_store_dwordx2 v[0:1], v[60:61], off
	v_or_b32_e32 v0, 0x1e00, v2
	v_mov_b32_e32 v1, v3
	v_lshl_add_u64 v[0:1], v[0:1], 3, s[6:7]
	global_store_dwordx2 v[0:1], v[54:55], off
	v_or_b32_e32 v0, 0x1f00, v2
	v_mov_b32_e32 v1, v3
	v_lshl_add_u64 v[0:1], v[0:1], 3, s[6:7]
	global_store_dwordx2 v[0:1], v[56:57], off
	v_or_b32_e32 v0, 0x2000, v2
	v_mov_b32_e32 v1, v3
	v_lshl_add_u64 v[0:1], v[0:1], 3, s[6:7]
	s_waitcnt vmcnt(44)
	global_store_dwordx2 v[0:1], v[82:83], off
	v_or_b32_e32 v0, 0x2100, v2
	v_mov_b32_e32 v1, v3
	v_lshl_add_u64 v[0:1], v[0:1], 3, s[6:7]
	global_store_dwordx2 v[0:1], v[84:85], off
	v_or_b32_e32 v0, 0x2200, v2
	v_mov_b32_e32 v1, v3
	v_lshl_add_u64 v[0:1], v[0:1], 3, s[6:7]
	global_store_dwordx2 v[0:1], v[78:79], off
	v_or_b32_e32 v0, 0x2300, v2
	v_mov_b32_e32 v1, v3
	v_lshl_add_u64 v[0:1], v[0:1], 3, s[6:7]
	global_store_dwordx2 v[0:1], v[80:81], off
	v_or_b32_e32 v0, 0x2400, v2
	v_mov_b32_e32 v1, v3
	v_lshl_add_u64 v[0:1], v[0:1], 3, s[6:7]
	;; [unrolled: 33-line block ×5, first 2 shown]
	global_store_dwordx2 v[0:1], v[122:123], off
	v_or_b32_e32 v0, 0x3d00, v2
	v_mov_b32_e32 v1, v3
	v_lshl_add_u64 v[0:1], v[0:1], 3, s[6:7]
	global_store_dwordx2 v[0:1], v[124:125], off
	v_or_b32_e32 v0, 0x3e00, v2
	v_mov_b32_e32 v1, v3
	v_lshl_add_u64 v[0:1], v[0:1], 3, s[6:7]
	v_or_b32_e32 v2, 0x3f00, v2
	global_store_dwordx2 v[0:1], v[118:119], off
	v_lshl_add_u64 v[0:1], v[2:3], 3, s[6:7]
	global_store_dwordx2 v[0:1], v[120:121], off
	s_endpgm
	.section	.rodata,"a",@progbits
	.p2align	6, 0x0
	.amdhsa_kernel _Z16warp_load_kernelILj256ELj64ELj32ELN6hipcub17WarpLoadAlgorithmE2EdEvPT3_S3_
		.amdhsa_group_segment_fixed_size 0
		.amdhsa_private_segment_fixed_size 0
		.amdhsa_kernarg_size 16
		.amdhsa_user_sgpr_count 2
		.amdhsa_user_sgpr_dispatch_ptr 0
		.amdhsa_user_sgpr_queue_ptr 0
		.amdhsa_user_sgpr_kernarg_segment_ptr 1
		.amdhsa_user_sgpr_dispatch_id 0
		.amdhsa_user_sgpr_kernarg_preload_length 0
		.amdhsa_user_sgpr_kernarg_preload_offset 0
		.amdhsa_user_sgpr_private_segment_size 0
		.amdhsa_uses_dynamic_stack 0
		.amdhsa_enable_private_segment 0
		.amdhsa_system_sgpr_workgroup_id_x 1
		.amdhsa_system_sgpr_workgroup_id_y 0
		.amdhsa_system_sgpr_workgroup_id_z 0
		.amdhsa_system_sgpr_workgroup_info 0
		.amdhsa_system_vgpr_workitem_id 0
		.amdhsa_next_free_vgpr 152
		.amdhsa_next_free_sgpr 8
		.amdhsa_accum_offset 152
		.amdhsa_reserve_vcc 0
		.amdhsa_float_round_mode_32 0
		.amdhsa_float_round_mode_16_64 0
		.amdhsa_float_denorm_mode_32 3
		.amdhsa_float_denorm_mode_16_64 3
		.amdhsa_dx10_clamp 1
		.amdhsa_ieee_mode 1
		.amdhsa_fp16_overflow 0
		.amdhsa_tg_split 0
		.amdhsa_exception_fp_ieee_invalid_op 0
		.amdhsa_exception_fp_denorm_src 0
		.amdhsa_exception_fp_ieee_div_zero 0
		.amdhsa_exception_fp_ieee_overflow 0
		.amdhsa_exception_fp_ieee_underflow 0
		.amdhsa_exception_fp_ieee_inexact 0
		.amdhsa_exception_int_div_zero 0
	.end_amdhsa_kernel
	.section	.text._Z16warp_load_kernelILj256ELj64ELj32ELN6hipcub17WarpLoadAlgorithmE2EdEvPT3_S3_,"axG",@progbits,_Z16warp_load_kernelILj256ELj64ELj32ELN6hipcub17WarpLoadAlgorithmE2EdEvPT3_S3_,comdat
.Lfunc_end36:
	.size	_Z16warp_load_kernelILj256ELj64ELj32ELN6hipcub17WarpLoadAlgorithmE2EdEvPT3_S3_, .Lfunc_end36-_Z16warp_load_kernelILj256ELj64ELj32ELN6hipcub17WarpLoadAlgorithmE2EdEvPT3_S3_
                                        ; -- End function
	.section	.AMDGPU.csdata,"",@progbits
; Kernel info:
; codeLenInByte = 2168
; NumSgprs: 14
; NumVgprs: 152
; NumAgprs: 0
; TotalNumVgprs: 152
; ScratchSize: 0
; MemoryBound: 1
; FloatMode: 240
; IeeeMode: 1
; LDSByteSize: 0 bytes/workgroup (compile time only)
; SGPRBlocks: 1
; VGPRBlocks: 18
; NumSGPRsForWavesPerEU: 14
; NumVGPRsForWavesPerEU: 152
; AccumOffset: 152
; Occupancy: 3
; WaveLimiterHint : 1
; COMPUTE_PGM_RSRC2:SCRATCH_EN: 0
; COMPUTE_PGM_RSRC2:USER_SGPR: 2
; COMPUTE_PGM_RSRC2:TRAP_HANDLER: 0
; COMPUTE_PGM_RSRC2:TGID_X_EN: 1
; COMPUTE_PGM_RSRC2:TGID_Y_EN: 0
; COMPUTE_PGM_RSRC2:TGID_Z_EN: 0
; COMPUTE_PGM_RSRC2:TIDIG_COMP_CNT: 0
; COMPUTE_PGM_RSRC3_GFX90A:ACCUM_OFFSET: 37
; COMPUTE_PGM_RSRC3_GFX90A:TG_SPLIT: 0
	.section	.text._Z16warp_load_kernelILj256ELj4ELj64ELN6hipcub17WarpLoadAlgorithmE0EiEvPT3_S3_,"axG",@progbits,_Z16warp_load_kernelILj256ELj4ELj64ELN6hipcub17WarpLoadAlgorithmE0EiEvPT3_S3_,comdat
	.protected	_Z16warp_load_kernelILj256ELj4ELj64ELN6hipcub17WarpLoadAlgorithmE0EiEvPT3_S3_ ; -- Begin function _Z16warp_load_kernelILj256ELj4ELj64ELN6hipcub17WarpLoadAlgorithmE0EiEvPT3_S3_
	.globl	_Z16warp_load_kernelILj256ELj4ELj64ELN6hipcub17WarpLoadAlgorithmE0EiEvPT3_S3_
	.p2align	8
	.type	_Z16warp_load_kernelILj256ELj4ELj64ELN6hipcub17WarpLoadAlgorithmE0EiEvPT3_S3_,@function
_Z16warp_load_kernelILj256ELj4ELj64ELN6hipcub17WarpLoadAlgorithmE0EiEvPT3_S3_: ; @_Z16warp_load_kernelILj256ELj4ELj64ELN6hipcub17WarpLoadAlgorithmE0EiEvPT3_S3_
; %bb.0:
	s_load_dwordx4 s[4:7], s[0:1], 0x0
	v_lshlrev_b32_e32 v4, 2, v0
	v_mbcnt_lo_u32_b32 v1, -1, 0
	s_lshl_b32 s0, s2, 10
	v_and_b32_e32 v4, 0x300, v4
	s_waitcnt lgkmcnt(0)
	v_mov_b32_e32 v2, s4
	v_mov_b32_e32 v3, s5
	v_mbcnt_hi_u32_b32 v1, -1, v1
	v_or_b32_e32 v6, s0, v4
	v_mov_b32_e32 v7, 0
	v_lshl_add_u64 v[2:3], v[6:7], 2, v[2:3]
	v_lshlrev_b32_e32 v6, 4, v1
	v_lshl_add_u64 v[2:3], v[2:3], 0, v[6:7]
	global_load_dwordx4 v[2:5], v[2:3], off
	v_or_b32_e32 v6, s0, v0
	v_mov_b32_e32 v1, v7
	v_mov_b32_e32 v9, v7
	v_lshl_add_u64 v[10:11], v[6:7], 2, s[6:7]
	v_or_b32_e32 v0, 0x100, v6
	v_or_b32_e32 v8, 0x200, v6
	;; [unrolled: 1-line block ×3, first 2 shown]
	v_lshl_add_u64 v[0:1], v[0:1], 2, s[6:7]
	v_lshl_add_u64 v[8:9], v[8:9], 2, s[6:7]
	;; [unrolled: 1-line block ×3, first 2 shown]
	s_waitcnt vmcnt(0)
	global_store_dword v[10:11], v2, off
	global_store_dword v[0:1], v3, off
	;; [unrolled: 1-line block ×4, first 2 shown]
	s_endpgm
	.section	.rodata,"a",@progbits
	.p2align	6, 0x0
	.amdhsa_kernel _Z16warp_load_kernelILj256ELj4ELj64ELN6hipcub17WarpLoadAlgorithmE0EiEvPT3_S3_
		.amdhsa_group_segment_fixed_size 0
		.amdhsa_private_segment_fixed_size 0
		.amdhsa_kernarg_size 16
		.amdhsa_user_sgpr_count 2
		.amdhsa_user_sgpr_dispatch_ptr 0
		.amdhsa_user_sgpr_queue_ptr 0
		.amdhsa_user_sgpr_kernarg_segment_ptr 1
		.amdhsa_user_sgpr_dispatch_id 0
		.amdhsa_user_sgpr_kernarg_preload_length 0
		.amdhsa_user_sgpr_kernarg_preload_offset 0
		.amdhsa_user_sgpr_private_segment_size 0
		.amdhsa_uses_dynamic_stack 0
		.amdhsa_enable_private_segment 0
		.amdhsa_system_sgpr_workgroup_id_x 1
		.amdhsa_system_sgpr_workgroup_id_y 0
		.amdhsa_system_sgpr_workgroup_id_z 0
		.amdhsa_system_sgpr_workgroup_info 0
		.amdhsa_system_vgpr_workitem_id 0
		.amdhsa_next_free_vgpr 12
		.amdhsa_next_free_sgpr 8
		.amdhsa_accum_offset 12
		.amdhsa_reserve_vcc 0
		.amdhsa_float_round_mode_32 0
		.amdhsa_float_round_mode_16_64 0
		.amdhsa_float_denorm_mode_32 3
		.amdhsa_float_denorm_mode_16_64 3
		.amdhsa_dx10_clamp 1
		.amdhsa_ieee_mode 1
		.amdhsa_fp16_overflow 0
		.amdhsa_tg_split 0
		.amdhsa_exception_fp_ieee_invalid_op 0
		.amdhsa_exception_fp_denorm_src 0
		.amdhsa_exception_fp_ieee_div_zero 0
		.amdhsa_exception_fp_ieee_overflow 0
		.amdhsa_exception_fp_ieee_underflow 0
		.amdhsa_exception_fp_ieee_inexact 0
		.amdhsa_exception_int_div_zero 0
	.end_amdhsa_kernel
	.section	.text._Z16warp_load_kernelILj256ELj4ELj64ELN6hipcub17WarpLoadAlgorithmE0EiEvPT3_S3_,"axG",@progbits,_Z16warp_load_kernelILj256ELj4ELj64ELN6hipcub17WarpLoadAlgorithmE0EiEvPT3_S3_,comdat
.Lfunc_end37:
	.size	_Z16warp_load_kernelILj256ELj4ELj64ELN6hipcub17WarpLoadAlgorithmE0EiEvPT3_S3_, .Lfunc_end37-_Z16warp_load_kernelILj256ELj4ELj64ELN6hipcub17WarpLoadAlgorithmE0EiEvPT3_S3_
                                        ; -- End function
	.section	.AMDGPU.csdata,"",@progbits
; Kernel info:
; codeLenInByte = 196
; NumSgprs: 14
; NumVgprs: 12
; NumAgprs: 0
; TotalNumVgprs: 12
; ScratchSize: 0
; MemoryBound: 0
; FloatMode: 240
; IeeeMode: 1
; LDSByteSize: 0 bytes/workgroup (compile time only)
; SGPRBlocks: 1
; VGPRBlocks: 1
; NumSGPRsForWavesPerEU: 14
; NumVGPRsForWavesPerEU: 12
; AccumOffset: 12
; Occupancy: 8
; WaveLimiterHint : 0
; COMPUTE_PGM_RSRC2:SCRATCH_EN: 0
; COMPUTE_PGM_RSRC2:USER_SGPR: 2
; COMPUTE_PGM_RSRC2:TRAP_HANDLER: 0
; COMPUTE_PGM_RSRC2:TGID_X_EN: 1
; COMPUTE_PGM_RSRC2:TGID_Y_EN: 0
; COMPUTE_PGM_RSRC2:TGID_Z_EN: 0
; COMPUTE_PGM_RSRC2:TIDIG_COMP_CNT: 0
; COMPUTE_PGM_RSRC3_GFX90A:ACCUM_OFFSET: 2
; COMPUTE_PGM_RSRC3_GFX90A:TG_SPLIT: 0
	.section	.text._Z16warp_load_kernelILj256ELj4ELj64ELN6hipcub17WarpLoadAlgorithmE1EiEvPT3_S3_,"axG",@progbits,_Z16warp_load_kernelILj256ELj4ELj64ELN6hipcub17WarpLoadAlgorithmE1EiEvPT3_S3_,comdat
	.protected	_Z16warp_load_kernelILj256ELj4ELj64ELN6hipcub17WarpLoadAlgorithmE1EiEvPT3_S3_ ; -- Begin function _Z16warp_load_kernelILj256ELj4ELj64ELN6hipcub17WarpLoadAlgorithmE1EiEvPT3_S3_
	.globl	_Z16warp_load_kernelILj256ELj4ELj64ELN6hipcub17WarpLoadAlgorithmE1EiEvPT3_S3_
	.p2align	8
	.type	_Z16warp_load_kernelILj256ELj4ELj64ELN6hipcub17WarpLoadAlgorithmE1EiEvPT3_S3_,@function
_Z16warp_load_kernelILj256ELj4ELj64ELN6hipcub17WarpLoadAlgorithmE1EiEvPT3_S3_: ; @_Z16warp_load_kernelILj256ELj4ELj64ELN6hipcub17WarpLoadAlgorithmE1EiEvPT3_S3_
; %bb.0:
	s_load_dwordx4 s[4:7], s[0:1], 0x0
	v_lshlrev_b32_e32 v4, 2, v0
	v_mbcnt_lo_u32_b32 v1, -1, 0
	s_lshl_b32 s0, s2, 10
	v_and_b32_e32 v4, 0x300, v4
	s_waitcnt lgkmcnt(0)
	v_mov_b32_e32 v2, s4
	v_mov_b32_e32 v3, s5
	v_mbcnt_hi_u32_b32 v1, -1, v1
	v_or_b32_e32 v4, s0, v4
	v_mov_b32_e32 v5, 0
	v_lshl_add_u64 v[2:3], v[4:5], 2, v[2:3]
	v_lshlrev_b32_e32 v4, 2, v1
	v_lshlrev_b32_e32 v1, 4, v1
	v_lshl_add_u64 v[2:3], v[2:3], 0, v[4:5]
	v_and_b32_e32 v4, 0x400, v1
	v_lshl_add_u64 v[2:3], v[2:3], 0, v[4:5]
	global_load_dword v8, v[2:3], off
	global_load_dword v9, v[2:3], off offset:256
	global_load_dword v10, v[2:3], off offset:512
	global_load_dword v11, v[2:3], off offset:768
	v_or_b32_e32 v4, s0, v0
	v_mov_b32_e32 v1, v5
	v_mov_b32_e32 v3, v5
	v_lshl_add_u64 v[6:7], v[4:5], 2, s[6:7]
	v_or_b32_e32 v0, 0x100, v4
	v_or_b32_e32 v2, 0x200, v4
	;; [unrolled: 1-line block ×3, first 2 shown]
	v_lshl_add_u64 v[0:1], v[0:1], 2, s[6:7]
	v_lshl_add_u64 v[2:3], v[2:3], 2, s[6:7]
	v_lshl_add_u64 v[4:5], v[4:5], 2, s[6:7]
	s_waitcnt vmcnt(3)
	global_store_dword v[6:7], v8, off
	s_waitcnt vmcnt(3)
	global_store_dword v[0:1], v9, off
	;; [unrolled: 2-line block ×4, first 2 shown]
	s_endpgm
	.section	.rodata,"a",@progbits
	.p2align	6, 0x0
	.amdhsa_kernel _Z16warp_load_kernelILj256ELj4ELj64ELN6hipcub17WarpLoadAlgorithmE1EiEvPT3_S3_
		.amdhsa_group_segment_fixed_size 0
		.amdhsa_private_segment_fixed_size 0
		.amdhsa_kernarg_size 16
		.amdhsa_user_sgpr_count 2
		.amdhsa_user_sgpr_dispatch_ptr 0
		.amdhsa_user_sgpr_queue_ptr 0
		.amdhsa_user_sgpr_kernarg_segment_ptr 1
		.amdhsa_user_sgpr_dispatch_id 0
		.amdhsa_user_sgpr_kernarg_preload_length 0
		.amdhsa_user_sgpr_kernarg_preload_offset 0
		.amdhsa_user_sgpr_private_segment_size 0
		.amdhsa_uses_dynamic_stack 0
		.amdhsa_enable_private_segment 0
		.amdhsa_system_sgpr_workgroup_id_x 1
		.amdhsa_system_sgpr_workgroup_id_y 0
		.amdhsa_system_sgpr_workgroup_id_z 0
		.amdhsa_system_sgpr_workgroup_info 0
		.amdhsa_system_vgpr_workitem_id 0
		.amdhsa_next_free_vgpr 12
		.amdhsa_next_free_sgpr 8
		.amdhsa_accum_offset 12
		.amdhsa_reserve_vcc 0
		.amdhsa_float_round_mode_32 0
		.amdhsa_float_round_mode_16_64 0
		.amdhsa_float_denorm_mode_32 3
		.amdhsa_float_denorm_mode_16_64 3
		.amdhsa_dx10_clamp 1
		.amdhsa_ieee_mode 1
		.amdhsa_fp16_overflow 0
		.amdhsa_tg_split 0
		.amdhsa_exception_fp_ieee_invalid_op 0
		.amdhsa_exception_fp_denorm_src 0
		.amdhsa_exception_fp_ieee_div_zero 0
		.amdhsa_exception_fp_ieee_overflow 0
		.amdhsa_exception_fp_ieee_underflow 0
		.amdhsa_exception_fp_ieee_inexact 0
		.amdhsa_exception_int_div_zero 0
	.end_amdhsa_kernel
	.section	.text._Z16warp_load_kernelILj256ELj4ELj64ELN6hipcub17WarpLoadAlgorithmE1EiEvPT3_S3_,"axG",@progbits,_Z16warp_load_kernelILj256ELj4ELj64ELN6hipcub17WarpLoadAlgorithmE1EiEvPT3_S3_,comdat
.Lfunc_end38:
	.size	_Z16warp_load_kernelILj256ELj4ELj64ELN6hipcub17WarpLoadAlgorithmE1EiEvPT3_S3_, .Lfunc_end38-_Z16warp_load_kernelILj256ELj4ELj64ELN6hipcub17WarpLoadAlgorithmE1EiEvPT3_S3_
                                        ; -- End function
	.section	.AMDGPU.csdata,"",@progbits
; Kernel info:
; codeLenInByte = 252
; NumSgprs: 14
; NumVgprs: 12
; NumAgprs: 0
; TotalNumVgprs: 12
; ScratchSize: 0
; MemoryBound: 0
; FloatMode: 240
; IeeeMode: 1
; LDSByteSize: 0 bytes/workgroup (compile time only)
; SGPRBlocks: 1
; VGPRBlocks: 1
; NumSGPRsForWavesPerEU: 14
; NumVGPRsForWavesPerEU: 12
; AccumOffset: 12
; Occupancy: 8
; WaveLimiterHint : 1
; COMPUTE_PGM_RSRC2:SCRATCH_EN: 0
; COMPUTE_PGM_RSRC2:USER_SGPR: 2
; COMPUTE_PGM_RSRC2:TRAP_HANDLER: 0
; COMPUTE_PGM_RSRC2:TGID_X_EN: 1
; COMPUTE_PGM_RSRC2:TGID_Y_EN: 0
; COMPUTE_PGM_RSRC2:TGID_Z_EN: 0
; COMPUTE_PGM_RSRC2:TIDIG_COMP_CNT: 0
; COMPUTE_PGM_RSRC3_GFX90A:ACCUM_OFFSET: 2
; COMPUTE_PGM_RSRC3_GFX90A:TG_SPLIT: 0
	.section	.text._Z16warp_load_kernelILj256ELj4ELj64ELN6hipcub17WarpLoadAlgorithmE2EiEvPT3_S3_,"axG",@progbits,_Z16warp_load_kernelILj256ELj4ELj64ELN6hipcub17WarpLoadAlgorithmE2EiEvPT3_S3_,comdat
	.protected	_Z16warp_load_kernelILj256ELj4ELj64ELN6hipcub17WarpLoadAlgorithmE2EiEvPT3_S3_ ; -- Begin function _Z16warp_load_kernelILj256ELj4ELj64ELN6hipcub17WarpLoadAlgorithmE2EiEvPT3_S3_
	.globl	_Z16warp_load_kernelILj256ELj4ELj64ELN6hipcub17WarpLoadAlgorithmE2EiEvPT3_S3_
	.p2align	8
	.type	_Z16warp_load_kernelILj256ELj4ELj64ELN6hipcub17WarpLoadAlgorithmE2EiEvPT3_S3_,@function
_Z16warp_load_kernelILj256ELj4ELj64ELN6hipcub17WarpLoadAlgorithmE2EiEvPT3_S3_: ; @_Z16warp_load_kernelILj256ELj4ELj64ELN6hipcub17WarpLoadAlgorithmE2EiEvPT3_S3_
; %bb.0:
	s_load_dwordx4 s[4:7], s[0:1], 0x0
	v_lshlrev_b32_e32 v4, 2, v0
	v_mbcnt_lo_u32_b32 v1, -1, 0
	s_lshl_b32 s0, s2, 10
	v_and_b32_e32 v4, 0x300, v4
	s_waitcnt lgkmcnt(0)
	v_mov_b32_e32 v2, s4
	v_mov_b32_e32 v3, s5
	v_mbcnt_hi_u32_b32 v1, -1, v1
	v_or_b32_e32 v6, s0, v4
	v_mov_b32_e32 v7, 0
	v_lshl_add_u64 v[2:3], v[6:7], 2, v[2:3]
	v_lshlrev_b32_e32 v6, 4, v1
	v_lshl_add_u64 v[2:3], v[2:3], 0, v[6:7]
	global_load_dwordx4 v[2:5], v[2:3], off
	v_or_b32_e32 v6, s0, v0
	v_mov_b32_e32 v1, v7
	v_mov_b32_e32 v9, v7
	v_lshl_add_u64 v[10:11], v[6:7], 2, s[6:7]
	v_or_b32_e32 v0, 0x100, v6
	v_or_b32_e32 v8, 0x200, v6
	;; [unrolled: 1-line block ×3, first 2 shown]
	v_lshl_add_u64 v[0:1], v[0:1], 2, s[6:7]
	v_lshl_add_u64 v[8:9], v[8:9], 2, s[6:7]
	;; [unrolled: 1-line block ×3, first 2 shown]
	s_waitcnt vmcnt(0)
	global_store_dword v[10:11], v2, off
	global_store_dword v[0:1], v3, off
	;; [unrolled: 1-line block ×4, first 2 shown]
	s_endpgm
	.section	.rodata,"a",@progbits
	.p2align	6, 0x0
	.amdhsa_kernel _Z16warp_load_kernelILj256ELj4ELj64ELN6hipcub17WarpLoadAlgorithmE2EiEvPT3_S3_
		.amdhsa_group_segment_fixed_size 0
		.amdhsa_private_segment_fixed_size 0
		.amdhsa_kernarg_size 16
		.amdhsa_user_sgpr_count 2
		.amdhsa_user_sgpr_dispatch_ptr 0
		.amdhsa_user_sgpr_queue_ptr 0
		.amdhsa_user_sgpr_kernarg_segment_ptr 1
		.amdhsa_user_sgpr_dispatch_id 0
		.amdhsa_user_sgpr_kernarg_preload_length 0
		.amdhsa_user_sgpr_kernarg_preload_offset 0
		.amdhsa_user_sgpr_private_segment_size 0
		.amdhsa_uses_dynamic_stack 0
		.amdhsa_enable_private_segment 0
		.amdhsa_system_sgpr_workgroup_id_x 1
		.amdhsa_system_sgpr_workgroup_id_y 0
		.amdhsa_system_sgpr_workgroup_id_z 0
		.amdhsa_system_sgpr_workgroup_info 0
		.amdhsa_system_vgpr_workitem_id 0
		.amdhsa_next_free_vgpr 12
		.amdhsa_next_free_sgpr 8
		.amdhsa_accum_offset 12
		.amdhsa_reserve_vcc 0
		.amdhsa_float_round_mode_32 0
		.amdhsa_float_round_mode_16_64 0
		.amdhsa_float_denorm_mode_32 3
		.amdhsa_float_denorm_mode_16_64 3
		.amdhsa_dx10_clamp 1
		.amdhsa_ieee_mode 1
		.amdhsa_fp16_overflow 0
		.amdhsa_tg_split 0
		.amdhsa_exception_fp_ieee_invalid_op 0
		.amdhsa_exception_fp_denorm_src 0
		.amdhsa_exception_fp_ieee_div_zero 0
		.amdhsa_exception_fp_ieee_overflow 0
		.amdhsa_exception_fp_ieee_underflow 0
		.amdhsa_exception_fp_ieee_inexact 0
		.amdhsa_exception_int_div_zero 0
	.end_amdhsa_kernel
	.section	.text._Z16warp_load_kernelILj256ELj4ELj64ELN6hipcub17WarpLoadAlgorithmE2EiEvPT3_S3_,"axG",@progbits,_Z16warp_load_kernelILj256ELj4ELj64ELN6hipcub17WarpLoadAlgorithmE2EiEvPT3_S3_,comdat
.Lfunc_end39:
	.size	_Z16warp_load_kernelILj256ELj4ELj64ELN6hipcub17WarpLoadAlgorithmE2EiEvPT3_S3_, .Lfunc_end39-_Z16warp_load_kernelILj256ELj4ELj64ELN6hipcub17WarpLoadAlgorithmE2EiEvPT3_S3_
                                        ; -- End function
	.section	.AMDGPU.csdata,"",@progbits
; Kernel info:
; codeLenInByte = 196
; NumSgprs: 14
; NumVgprs: 12
; NumAgprs: 0
; TotalNumVgprs: 12
; ScratchSize: 0
; MemoryBound: 0
; FloatMode: 240
; IeeeMode: 1
; LDSByteSize: 0 bytes/workgroup (compile time only)
; SGPRBlocks: 1
; VGPRBlocks: 1
; NumSGPRsForWavesPerEU: 14
; NumVGPRsForWavesPerEU: 12
; AccumOffset: 12
; Occupancy: 8
; WaveLimiterHint : 0
; COMPUTE_PGM_RSRC2:SCRATCH_EN: 0
; COMPUTE_PGM_RSRC2:USER_SGPR: 2
; COMPUTE_PGM_RSRC2:TRAP_HANDLER: 0
; COMPUTE_PGM_RSRC2:TGID_X_EN: 1
; COMPUTE_PGM_RSRC2:TGID_Y_EN: 0
; COMPUTE_PGM_RSRC2:TGID_Z_EN: 0
; COMPUTE_PGM_RSRC2:TIDIG_COMP_CNT: 0
; COMPUTE_PGM_RSRC3_GFX90A:ACCUM_OFFSET: 2
; COMPUTE_PGM_RSRC3_GFX90A:TG_SPLIT: 0
	.section	.text._Z16warp_load_kernelILj256ELj4ELj64ELN6hipcub17WarpLoadAlgorithmE3EiEvPT3_S3_,"axG",@progbits,_Z16warp_load_kernelILj256ELj4ELj64ELN6hipcub17WarpLoadAlgorithmE3EiEvPT3_S3_,comdat
	.protected	_Z16warp_load_kernelILj256ELj4ELj64ELN6hipcub17WarpLoadAlgorithmE3EiEvPT3_S3_ ; -- Begin function _Z16warp_load_kernelILj256ELj4ELj64ELN6hipcub17WarpLoadAlgorithmE3EiEvPT3_S3_
	.globl	_Z16warp_load_kernelILj256ELj4ELj64ELN6hipcub17WarpLoadAlgorithmE3EiEvPT3_S3_
	.p2align	8
	.type	_Z16warp_load_kernelILj256ELj4ELj64ELN6hipcub17WarpLoadAlgorithmE3EiEvPT3_S3_,@function
_Z16warp_load_kernelILj256ELj4ELj64ELN6hipcub17WarpLoadAlgorithmE3EiEvPT3_S3_: ; @_Z16warp_load_kernelILj256ELj4ELj64ELN6hipcub17WarpLoadAlgorithmE3EiEvPT3_S3_
; %bb.0:
	s_load_dwordx4 s[4:7], s[0:1], 0x0
	v_lshrrev_b32_e32 v1, 6, v0
	v_mbcnt_lo_u32_b32 v4, -1, 0
	s_lshl_b32 s0, s2, 10
	v_mbcnt_hi_u32_b32 v6, -1, v4
	s_waitcnt lgkmcnt(0)
	v_mov_b32_e32 v2, s4
	v_mov_b32_e32 v3, s5
	v_lshl_or_b32 v4, v1, 8, s0
	v_mov_b32_e32 v5, 0
	v_lshl_add_u64 v[2:3], v[4:5], 2, v[2:3]
	v_lshlrev_b32_e32 v4, 2, v6
	v_lshlrev_b32_e32 v8, 4, v6
	v_lshl_add_u64 v[2:3], v[2:3], 0, v[4:5]
	v_and_b32_e32 v6, 0x400, v8
	v_mov_b32_e32 v7, v5
	v_lshl_add_u64 v[2:3], v[2:3], 0, v[6:7]
	global_load_dword v12, v[2:3], off
	global_load_dword v13, v[2:3], off offset:256
	global_load_dword v14, v[2:3], off offset:512
	;; [unrolled: 1-line block ×3, first 2 shown]
	v_lshlrev_b32_e32 v1, 10, v1
	v_add_u32_e32 v2, v1, v8
	v_or_b32_e32 v1, v1, v4
	v_or_b32_e32 v4, s0, v0
	v_mov_b32_e32 v9, v5
	v_lshl_add_u64 v[10:11], v[4:5], 2, s[6:7]
	v_or_b32_e32 v6, 0x100, v4
	v_or_b32_e32 v8, 0x200, v4
	;; [unrolled: 1-line block ×3, first 2 shown]
	v_lshl_add_u64 v[6:7], v[6:7], 2, s[6:7]
	v_lshl_add_u64 v[8:9], v[8:9], 2, s[6:7]
	v_lshl_add_u64 v[4:5], v[4:5], 2, s[6:7]
	s_waitcnt vmcnt(2)
	ds_write2st64_b32 v1, v12, v13 offset1:1
	s_waitcnt vmcnt(0)
	ds_write2st64_b32 v1, v14, v15 offset0:2 offset1:3
	; wave barrier
	ds_read_b128 v[0:3], v2
	s_waitcnt lgkmcnt(0)
	global_store_dword v[10:11], v0, off
	global_store_dword v[6:7], v1, off
	;; [unrolled: 1-line block ×4, first 2 shown]
	s_endpgm
	.section	.rodata,"a",@progbits
	.p2align	6, 0x0
	.amdhsa_kernel _Z16warp_load_kernelILj256ELj4ELj64ELN6hipcub17WarpLoadAlgorithmE3EiEvPT3_S3_
		.amdhsa_group_segment_fixed_size 4096
		.amdhsa_private_segment_fixed_size 0
		.amdhsa_kernarg_size 16
		.amdhsa_user_sgpr_count 2
		.amdhsa_user_sgpr_dispatch_ptr 0
		.amdhsa_user_sgpr_queue_ptr 0
		.amdhsa_user_sgpr_kernarg_segment_ptr 1
		.amdhsa_user_sgpr_dispatch_id 0
		.amdhsa_user_sgpr_kernarg_preload_length 0
		.amdhsa_user_sgpr_kernarg_preload_offset 0
		.amdhsa_user_sgpr_private_segment_size 0
		.amdhsa_uses_dynamic_stack 0
		.amdhsa_enable_private_segment 0
		.amdhsa_system_sgpr_workgroup_id_x 1
		.amdhsa_system_sgpr_workgroup_id_y 0
		.amdhsa_system_sgpr_workgroup_id_z 0
		.amdhsa_system_sgpr_workgroup_info 0
		.amdhsa_system_vgpr_workitem_id 0
		.amdhsa_next_free_vgpr 16
		.amdhsa_next_free_sgpr 8
		.amdhsa_accum_offset 16
		.amdhsa_reserve_vcc 0
		.amdhsa_float_round_mode_32 0
		.amdhsa_float_round_mode_16_64 0
		.amdhsa_float_denorm_mode_32 3
		.amdhsa_float_denorm_mode_16_64 3
		.amdhsa_dx10_clamp 1
		.amdhsa_ieee_mode 1
		.amdhsa_fp16_overflow 0
		.amdhsa_tg_split 0
		.amdhsa_exception_fp_ieee_invalid_op 0
		.amdhsa_exception_fp_denorm_src 0
		.amdhsa_exception_fp_ieee_div_zero 0
		.amdhsa_exception_fp_ieee_overflow 0
		.amdhsa_exception_fp_ieee_underflow 0
		.amdhsa_exception_fp_ieee_inexact 0
		.amdhsa_exception_int_div_zero 0
	.end_amdhsa_kernel
	.section	.text._Z16warp_load_kernelILj256ELj4ELj64ELN6hipcub17WarpLoadAlgorithmE3EiEvPT3_S3_,"axG",@progbits,_Z16warp_load_kernelILj256ELj4ELj64ELN6hipcub17WarpLoadAlgorithmE3EiEvPT3_S3_,comdat
.Lfunc_end40:
	.size	_Z16warp_load_kernelILj256ELj4ELj64ELN6hipcub17WarpLoadAlgorithmE3EiEvPT3_S3_, .Lfunc_end40-_Z16warp_load_kernelILj256ELj4ELj64ELN6hipcub17WarpLoadAlgorithmE3EiEvPT3_S3_
                                        ; -- End function
	.section	.AMDGPU.csdata,"",@progbits
; Kernel info:
; codeLenInByte = 280
; NumSgprs: 14
; NumVgprs: 16
; NumAgprs: 0
; TotalNumVgprs: 16
; ScratchSize: 0
; MemoryBound: 0
; FloatMode: 240
; IeeeMode: 1
; LDSByteSize: 4096 bytes/workgroup (compile time only)
; SGPRBlocks: 1
; VGPRBlocks: 1
; NumSGPRsForWavesPerEU: 14
; NumVGPRsForWavesPerEU: 16
; AccumOffset: 16
; Occupancy: 8
; WaveLimiterHint : 1
; COMPUTE_PGM_RSRC2:SCRATCH_EN: 0
; COMPUTE_PGM_RSRC2:USER_SGPR: 2
; COMPUTE_PGM_RSRC2:TRAP_HANDLER: 0
; COMPUTE_PGM_RSRC2:TGID_X_EN: 1
; COMPUTE_PGM_RSRC2:TGID_Y_EN: 0
; COMPUTE_PGM_RSRC2:TGID_Z_EN: 0
; COMPUTE_PGM_RSRC2:TIDIG_COMP_CNT: 0
; COMPUTE_PGM_RSRC3_GFX90A:ACCUM_OFFSET: 3
; COMPUTE_PGM_RSRC3_GFX90A:TG_SPLIT: 0
	.section	.text._Z16warp_load_kernelILj256ELj8ELj64ELN6hipcub17WarpLoadAlgorithmE0EiEvPT3_S3_,"axG",@progbits,_Z16warp_load_kernelILj256ELj8ELj64ELN6hipcub17WarpLoadAlgorithmE0EiEvPT3_S3_,comdat
	.protected	_Z16warp_load_kernelILj256ELj8ELj64ELN6hipcub17WarpLoadAlgorithmE0EiEvPT3_S3_ ; -- Begin function _Z16warp_load_kernelILj256ELj8ELj64ELN6hipcub17WarpLoadAlgorithmE0EiEvPT3_S3_
	.globl	_Z16warp_load_kernelILj256ELj8ELj64ELN6hipcub17WarpLoadAlgorithmE0EiEvPT3_S3_
	.p2align	8
	.type	_Z16warp_load_kernelILj256ELj8ELj64ELN6hipcub17WarpLoadAlgorithmE0EiEvPT3_S3_,@function
_Z16warp_load_kernelILj256ELj8ELj64ELN6hipcub17WarpLoadAlgorithmE0EiEvPT3_S3_: ; @_Z16warp_load_kernelILj256ELj8ELj64ELN6hipcub17WarpLoadAlgorithmE0EiEvPT3_S3_
; %bb.0:
	s_load_dwordx4 s[4:7], s[0:1], 0x0
	v_lshlrev_b32_e32 v4, 3, v0
	v_mbcnt_lo_u32_b32 v1, -1, 0
	s_lshl_b32 s0, s2, 11
	v_and_b32_e32 v4, 0x600, v4
	s_waitcnt lgkmcnt(0)
	v_mov_b32_e32 v2, s4
	v_mov_b32_e32 v3, s5
	v_mbcnt_hi_u32_b32 v1, -1, v1
	v_or_b32_e32 v10, s0, v4
	v_mov_b32_e32 v11, 0
	v_lshl_add_u64 v[2:3], v[10:11], 2, v[2:3]
	v_lshlrev_b32_e32 v10, 5, v1
	v_lshl_add_u64 v[12:13], v[2:3], 0, v[10:11]
	global_load_dwordx4 v[2:5], v[12:13], off
	global_load_dwordx4 v[6:9], v[12:13], off offset:16
	v_or_b32_e32 v10, s0, v0
	v_mov_b32_e32 v1, v11
	v_mov_b32_e32 v13, v11
	;; [unrolled: 1-line block ×3, first 2 shown]
	v_lshl_add_u64 v[16:17], v[10:11], 2, s[6:7]
	v_or_b32_e32 v0, 0x400, v10
	v_or_b32_e32 v12, 0x500, v10
	;; [unrolled: 1-line block ×4, first 2 shown]
	v_lshl_add_u64 v[0:1], v[0:1], 2, s[6:7]
	v_lshl_add_u64 v[12:13], v[12:13], 2, s[6:7]
	;; [unrolled: 1-line block ×4, first 2 shown]
	s_waitcnt vmcnt(1)
	global_store_dword v[16:17], v2, off
	global_store_dword v[16:17], v3, off offset:1024
	global_store_dword v[16:17], v4, off offset:2048
	;; [unrolled: 1-line block ×3, first 2 shown]
	s_waitcnt vmcnt(4)
	global_store_dword v[0:1], v6, off
	global_store_dword v[12:13], v7, off
	;; [unrolled: 1-line block ×4, first 2 shown]
	s_endpgm
	.section	.rodata,"a",@progbits
	.p2align	6, 0x0
	.amdhsa_kernel _Z16warp_load_kernelILj256ELj8ELj64ELN6hipcub17WarpLoadAlgorithmE0EiEvPT3_S3_
		.amdhsa_group_segment_fixed_size 0
		.amdhsa_private_segment_fixed_size 0
		.amdhsa_kernarg_size 16
		.amdhsa_user_sgpr_count 2
		.amdhsa_user_sgpr_dispatch_ptr 0
		.amdhsa_user_sgpr_queue_ptr 0
		.amdhsa_user_sgpr_kernarg_segment_ptr 1
		.amdhsa_user_sgpr_dispatch_id 0
		.amdhsa_user_sgpr_kernarg_preload_length 0
		.amdhsa_user_sgpr_kernarg_preload_offset 0
		.amdhsa_user_sgpr_private_segment_size 0
		.amdhsa_uses_dynamic_stack 0
		.amdhsa_enable_private_segment 0
		.amdhsa_system_sgpr_workgroup_id_x 1
		.amdhsa_system_sgpr_workgroup_id_y 0
		.amdhsa_system_sgpr_workgroup_id_z 0
		.amdhsa_system_sgpr_workgroup_info 0
		.amdhsa_system_vgpr_workitem_id 0
		.amdhsa_next_free_vgpr 18
		.amdhsa_next_free_sgpr 8
		.amdhsa_accum_offset 20
		.amdhsa_reserve_vcc 0
		.amdhsa_float_round_mode_32 0
		.amdhsa_float_round_mode_16_64 0
		.amdhsa_float_denorm_mode_32 3
		.amdhsa_float_denorm_mode_16_64 3
		.amdhsa_dx10_clamp 1
		.amdhsa_ieee_mode 1
		.amdhsa_fp16_overflow 0
		.amdhsa_tg_split 0
		.amdhsa_exception_fp_ieee_invalid_op 0
		.amdhsa_exception_fp_denorm_src 0
		.amdhsa_exception_fp_ieee_div_zero 0
		.amdhsa_exception_fp_ieee_overflow 0
		.amdhsa_exception_fp_ieee_underflow 0
		.amdhsa_exception_fp_ieee_inexact 0
		.amdhsa_exception_int_div_zero 0
	.end_amdhsa_kernel
	.section	.text._Z16warp_load_kernelILj256ELj8ELj64ELN6hipcub17WarpLoadAlgorithmE0EiEvPT3_S3_,"axG",@progbits,_Z16warp_load_kernelILj256ELj8ELj64ELN6hipcub17WarpLoadAlgorithmE0EiEvPT3_S3_,comdat
.Lfunc_end41:
	.size	_Z16warp_load_kernelILj256ELj8ELj64ELN6hipcub17WarpLoadAlgorithmE0EiEvPT3_S3_, .Lfunc_end41-_Z16warp_load_kernelILj256ELj8ELj64ELN6hipcub17WarpLoadAlgorithmE0EiEvPT3_S3_
                                        ; -- End function
	.section	.AMDGPU.csdata,"",@progbits
; Kernel info:
; codeLenInByte = 260
; NumSgprs: 14
; NumVgprs: 18
; NumAgprs: 0
; TotalNumVgprs: 18
; ScratchSize: 0
; MemoryBound: 0
; FloatMode: 240
; IeeeMode: 1
; LDSByteSize: 0 bytes/workgroup (compile time only)
; SGPRBlocks: 1
; VGPRBlocks: 2
; NumSGPRsForWavesPerEU: 14
; NumVGPRsForWavesPerEU: 18
; AccumOffset: 20
; Occupancy: 8
; WaveLimiterHint : 1
; COMPUTE_PGM_RSRC2:SCRATCH_EN: 0
; COMPUTE_PGM_RSRC2:USER_SGPR: 2
; COMPUTE_PGM_RSRC2:TRAP_HANDLER: 0
; COMPUTE_PGM_RSRC2:TGID_X_EN: 1
; COMPUTE_PGM_RSRC2:TGID_Y_EN: 0
; COMPUTE_PGM_RSRC2:TGID_Z_EN: 0
; COMPUTE_PGM_RSRC2:TIDIG_COMP_CNT: 0
; COMPUTE_PGM_RSRC3_GFX90A:ACCUM_OFFSET: 4
; COMPUTE_PGM_RSRC3_GFX90A:TG_SPLIT: 0
	.section	.text._Z16warp_load_kernelILj256ELj8ELj64ELN6hipcub17WarpLoadAlgorithmE1EiEvPT3_S3_,"axG",@progbits,_Z16warp_load_kernelILj256ELj8ELj64ELN6hipcub17WarpLoadAlgorithmE1EiEvPT3_S3_,comdat
	.protected	_Z16warp_load_kernelILj256ELj8ELj64ELN6hipcub17WarpLoadAlgorithmE1EiEvPT3_S3_ ; -- Begin function _Z16warp_load_kernelILj256ELj8ELj64ELN6hipcub17WarpLoadAlgorithmE1EiEvPT3_S3_
	.globl	_Z16warp_load_kernelILj256ELj8ELj64ELN6hipcub17WarpLoadAlgorithmE1EiEvPT3_S3_
	.p2align	8
	.type	_Z16warp_load_kernelILj256ELj8ELj64ELN6hipcub17WarpLoadAlgorithmE1EiEvPT3_S3_,@function
_Z16warp_load_kernelILj256ELj8ELj64ELN6hipcub17WarpLoadAlgorithmE1EiEvPT3_S3_: ; @_Z16warp_load_kernelILj256ELj8ELj64ELN6hipcub17WarpLoadAlgorithmE1EiEvPT3_S3_
; %bb.0:
	s_load_dwordx4 s[4:7], s[0:1], 0x0
	v_lshlrev_b32_e32 v4, 3, v0
	v_mbcnt_lo_u32_b32 v1, -1, 0
	s_lshl_b32 s0, s2, 11
	v_and_b32_e32 v4, 0x600, v4
	s_waitcnt lgkmcnt(0)
	v_mov_b32_e32 v2, s4
	v_mov_b32_e32 v3, s5
	v_mbcnt_hi_u32_b32 v1, -1, v1
	v_or_b32_e32 v4, s0, v4
	v_mov_b32_e32 v5, 0
	v_lshl_add_u64 v[2:3], v[4:5], 2, v[2:3]
	v_lshlrev_b32_e32 v4, 2, v1
	v_lshlrev_b32_e32 v1, 5, v1
	v_lshl_add_u64 v[2:3], v[2:3], 0, v[4:5]
	v_and_b32_e32 v4, 0x800, v1
	v_lshl_add_u64 v[2:3], v[2:3], 0, v[4:5]
	global_load_dword v10, v[2:3], off
	global_load_dword v11, v[2:3], off offset:256
	global_load_dword v12, v[2:3], off offset:512
	global_load_dword v13, v[2:3], off offset:768
	global_load_dword v14, v[2:3], off offset:1024
	global_load_dword v15, v[2:3], off offset:1280
	global_load_dword v16, v[2:3], off offset:1536
	global_load_dword v17, v[2:3], off offset:1792
	v_or_b32_e32 v4, s0, v0
	v_mov_b32_e32 v1, v5
	v_mov_b32_e32 v3, v5
	;; [unrolled: 1-line block ×3, first 2 shown]
	v_lshl_add_u64 v[8:9], v[4:5], 2, s[6:7]
	v_or_b32_e32 v0, 0x400, v4
	v_or_b32_e32 v2, 0x500, v4
	;; [unrolled: 1-line block ×4, first 2 shown]
	v_lshl_add_u64 v[0:1], v[0:1], 2, s[6:7]
	v_lshl_add_u64 v[2:3], v[2:3], 2, s[6:7]
	;; [unrolled: 1-line block ×4, first 2 shown]
	s_waitcnt vmcnt(7)
	global_store_dword v[8:9], v10, off
	s_waitcnt vmcnt(7)
	global_store_dword v[8:9], v11, off offset:1024
	s_waitcnt vmcnt(7)
	global_store_dword v[8:9], v12, off offset:2048
	;; [unrolled: 2-line block ×3, first 2 shown]
	s_waitcnt vmcnt(7)
	global_store_dword v[0:1], v14, off
	s_waitcnt vmcnt(7)
	global_store_dword v[2:3], v15, off
	;; [unrolled: 2-line block ×4, first 2 shown]
	s_endpgm
	.section	.rodata,"a",@progbits
	.p2align	6, 0x0
	.amdhsa_kernel _Z16warp_load_kernelILj256ELj8ELj64ELN6hipcub17WarpLoadAlgorithmE1EiEvPT3_S3_
		.amdhsa_group_segment_fixed_size 0
		.amdhsa_private_segment_fixed_size 0
		.amdhsa_kernarg_size 16
		.amdhsa_user_sgpr_count 2
		.amdhsa_user_sgpr_dispatch_ptr 0
		.amdhsa_user_sgpr_queue_ptr 0
		.amdhsa_user_sgpr_kernarg_segment_ptr 1
		.amdhsa_user_sgpr_dispatch_id 0
		.amdhsa_user_sgpr_kernarg_preload_length 0
		.amdhsa_user_sgpr_kernarg_preload_offset 0
		.amdhsa_user_sgpr_private_segment_size 0
		.amdhsa_uses_dynamic_stack 0
		.amdhsa_enable_private_segment 0
		.amdhsa_system_sgpr_workgroup_id_x 1
		.amdhsa_system_sgpr_workgroup_id_y 0
		.amdhsa_system_sgpr_workgroup_id_z 0
		.amdhsa_system_sgpr_workgroup_info 0
		.amdhsa_system_vgpr_workitem_id 0
		.amdhsa_next_free_vgpr 18
		.amdhsa_next_free_sgpr 8
		.amdhsa_accum_offset 20
		.amdhsa_reserve_vcc 0
		.amdhsa_float_round_mode_32 0
		.amdhsa_float_round_mode_16_64 0
		.amdhsa_float_denorm_mode_32 3
		.amdhsa_float_denorm_mode_16_64 3
		.amdhsa_dx10_clamp 1
		.amdhsa_ieee_mode 1
		.amdhsa_fp16_overflow 0
		.amdhsa_tg_split 0
		.amdhsa_exception_fp_ieee_invalid_op 0
		.amdhsa_exception_fp_denorm_src 0
		.amdhsa_exception_fp_ieee_div_zero 0
		.amdhsa_exception_fp_ieee_overflow 0
		.amdhsa_exception_fp_ieee_underflow 0
		.amdhsa_exception_fp_ieee_inexact 0
		.amdhsa_exception_int_div_zero 0
	.end_amdhsa_kernel
	.section	.text._Z16warp_load_kernelILj256ELj8ELj64ELN6hipcub17WarpLoadAlgorithmE1EiEvPT3_S3_,"axG",@progbits,_Z16warp_load_kernelILj256ELj8ELj64ELN6hipcub17WarpLoadAlgorithmE1EiEvPT3_S3_,comdat
.Lfunc_end42:
	.size	_Z16warp_load_kernelILj256ELj8ELj64ELN6hipcub17WarpLoadAlgorithmE1EiEvPT3_S3_, .Lfunc_end42-_Z16warp_load_kernelILj256ELj8ELj64ELN6hipcub17WarpLoadAlgorithmE1EiEvPT3_S3_
                                        ; -- End function
	.section	.AMDGPU.csdata,"",@progbits
; Kernel info:
; codeLenInByte = 352
; NumSgprs: 14
; NumVgprs: 18
; NumAgprs: 0
; TotalNumVgprs: 18
; ScratchSize: 0
; MemoryBound: 0
; FloatMode: 240
; IeeeMode: 1
; LDSByteSize: 0 bytes/workgroup (compile time only)
; SGPRBlocks: 1
; VGPRBlocks: 2
; NumSGPRsForWavesPerEU: 14
; NumVGPRsForWavesPerEU: 18
; AccumOffset: 20
; Occupancy: 8
; WaveLimiterHint : 1
; COMPUTE_PGM_RSRC2:SCRATCH_EN: 0
; COMPUTE_PGM_RSRC2:USER_SGPR: 2
; COMPUTE_PGM_RSRC2:TRAP_HANDLER: 0
; COMPUTE_PGM_RSRC2:TGID_X_EN: 1
; COMPUTE_PGM_RSRC2:TGID_Y_EN: 0
; COMPUTE_PGM_RSRC2:TGID_Z_EN: 0
; COMPUTE_PGM_RSRC2:TIDIG_COMP_CNT: 0
; COMPUTE_PGM_RSRC3_GFX90A:ACCUM_OFFSET: 4
; COMPUTE_PGM_RSRC3_GFX90A:TG_SPLIT: 0
	.section	.text._Z16warp_load_kernelILj256ELj8ELj64ELN6hipcub17WarpLoadAlgorithmE2EiEvPT3_S3_,"axG",@progbits,_Z16warp_load_kernelILj256ELj8ELj64ELN6hipcub17WarpLoadAlgorithmE2EiEvPT3_S3_,comdat
	.protected	_Z16warp_load_kernelILj256ELj8ELj64ELN6hipcub17WarpLoadAlgorithmE2EiEvPT3_S3_ ; -- Begin function _Z16warp_load_kernelILj256ELj8ELj64ELN6hipcub17WarpLoadAlgorithmE2EiEvPT3_S3_
	.globl	_Z16warp_load_kernelILj256ELj8ELj64ELN6hipcub17WarpLoadAlgorithmE2EiEvPT3_S3_
	.p2align	8
	.type	_Z16warp_load_kernelILj256ELj8ELj64ELN6hipcub17WarpLoadAlgorithmE2EiEvPT3_S3_,@function
_Z16warp_load_kernelILj256ELj8ELj64ELN6hipcub17WarpLoadAlgorithmE2EiEvPT3_S3_: ; @_Z16warp_load_kernelILj256ELj8ELj64ELN6hipcub17WarpLoadAlgorithmE2EiEvPT3_S3_
; %bb.0:
	s_load_dwordx4 s[4:7], s[0:1], 0x0
	v_lshlrev_b32_e32 v4, 3, v0
	v_mbcnt_lo_u32_b32 v1, -1, 0
	s_lshl_b32 s0, s2, 11
	v_and_b32_e32 v4, 0x600, v4
	s_waitcnt lgkmcnt(0)
	v_mov_b32_e32 v2, s4
	v_mov_b32_e32 v3, s5
	v_mbcnt_hi_u32_b32 v1, -1, v1
	v_or_b32_e32 v10, s0, v4
	v_mov_b32_e32 v11, 0
	v_lshl_add_u64 v[2:3], v[10:11], 2, v[2:3]
	v_lshlrev_b32_e32 v10, 5, v1
	v_lshl_add_u64 v[12:13], v[2:3], 0, v[10:11]
	global_load_dwordx4 v[2:5], v[12:13], off
	global_load_dwordx4 v[6:9], v[12:13], off offset:16
	v_or_b32_e32 v10, s0, v0
	v_mov_b32_e32 v1, v11
	v_mov_b32_e32 v13, v11
	;; [unrolled: 1-line block ×3, first 2 shown]
	v_lshl_add_u64 v[16:17], v[10:11], 2, s[6:7]
	v_or_b32_e32 v0, 0x400, v10
	v_or_b32_e32 v12, 0x500, v10
	;; [unrolled: 1-line block ×4, first 2 shown]
	v_lshl_add_u64 v[0:1], v[0:1], 2, s[6:7]
	v_lshl_add_u64 v[12:13], v[12:13], 2, s[6:7]
	;; [unrolled: 1-line block ×4, first 2 shown]
	s_waitcnt vmcnt(1)
	global_store_dword v[16:17], v2, off
	global_store_dword v[16:17], v3, off offset:1024
	global_store_dword v[16:17], v4, off offset:2048
	;; [unrolled: 1-line block ×3, first 2 shown]
	s_waitcnt vmcnt(4)
	global_store_dword v[0:1], v6, off
	global_store_dword v[12:13], v7, off
	;; [unrolled: 1-line block ×4, first 2 shown]
	s_endpgm
	.section	.rodata,"a",@progbits
	.p2align	6, 0x0
	.amdhsa_kernel _Z16warp_load_kernelILj256ELj8ELj64ELN6hipcub17WarpLoadAlgorithmE2EiEvPT3_S3_
		.amdhsa_group_segment_fixed_size 0
		.amdhsa_private_segment_fixed_size 0
		.amdhsa_kernarg_size 16
		.amdhsa_user_sgpr_count 2
		.amdhsa_user_sgpr_dispatch_ptr 0
		.amdhsa_user_sgpr_queue_ptr 0
		.amdhsa_user_sgpr_kernarg_segment_ptr 1
		.amdhsa_user_sgpr_dispatch_id 0
		.amdhsa_user_sgpr_kernarg_preload_length 0
		.amdhsa_user_sgpr_kernarg_preload_offset 0
		.amdhsa_user_sgpr_private_segment_size 0
		.amdhsa_uses_dynamic_stack 0
		.amdhsa_enable_private_segment 0
		.amdhsa_system_sgpr_workgroup_id_x 1
		.amdhsa_system_sgpr_workgroup_id_y 0
		.amdhsa_system_sgpr_workgroup_id_z 0
		.amdhsa_system_sgpr_workgroup_info 0
		.amdhsa_system_vgpr_workitem_id 0
		.amdhsa_next_free_vgpr 18
		.amdhsa_next_free_sgpr 8
		.amdhsa_accum_offset 20
		.amdhsa_reserve_vcc 0
		.amdhsa_float_round_mode_32 0
		.amdhsa_float_round_mode_16_64 0
		.amdhsa_float_denorm_mode_32 3
		.amdhsa_float_denorm_mode_16_64 3
		.amdhsa_dx10_clamp 1
		.amdhsa_ieee_mode 1
		.amdhsa_fp16_overflow 0
		.amdhsa_tg_split 0
		.amdhsa_exception_fp_ieee_invalid_op 0
		.amdhsa_exception_fp_denorm_src 0
		.amdhsa_exception_fp_ieee_div_zero 0
		.amdhsa_exception_fp_ieee_overflow 0
		.amdhsa_exception_fp_ieee_underflow 0
		.amdhsa_exception_fp_ieee_inexact 0
		.amdhsa_exception_int_div_zero 0
	.end_amdhsa_kernel
	.section	.text._Z16warp_load_kernelILj256ELj8ELj64ELN6hipcub17WarpLoadAlgorithmE2EiEvPT3_S3_,"axG",@progbits,_Z16warp_load_kernelILj256ELj8ELj64ELN6hipcub17WarpLoadAlgorithmE2EiEvPT3_S3_,comdat
.Lfunc_end43:
	.size	_Z16warp_load_kernelILj256ELj8ELj64ELN6hipcub17WarpLoadAlgorithmE2EiEvPT3_S3_, .Lfunc_end43-_Z16warp_load_kernelILj256ELj8ELj64ELN6hipcub17WarpLoadAlgorithmE2EiEvPT3_S3_
                                        ; -- End function
	.section	.AMDGPU.csdata,"",@progbits
; Kernel info:
; codeLenInByte = 260
; NumSgprs: 14
; NumVgprs: 18
; NumAgprs: 0
; TotalNumVgprs: 18
; ScratchSize: 0
; MemoryBound: 0
; FloatMode: 240
; IeeeMode: 1
; LDSByteSize: 0 bytes/workgroup (compile time only)
; SGPRBlocks: 1
; VGPRBlocks: 2
; NumSGPRsForWavesPerEU: 14
; NumVGPRsForWavesPerEU: 18
; AccumOffset: 20
; Occupancy: 8
; WaveLimiterHint : 1
; COMPUTE_PGM_RSRC2:SCRATCH_EN: 0
; COMPUTE_PGM_RSRC2:USER_SGPR: 2
; COMPUTE_PGM_RSRC2:TRAP_HANDLER: 0
; COMPUTE_PGM_RSRC2:TGID_X_EN: 1
; COMPUTE_PGM_RSRC2:TGID_Y_EN: 0
; COMPUTE_PGM_RSRC2:TGID_Z_EN: 0
; COMPUTE_PGM_RSRC2:TIDIG_COMP_CNT: 0
; COMPUTE_PGM_RSRC3_GFX90A:ACCUM_OFFSET: 4
; COMPUTE_PGM_RSRC3_GFX90A:TG_SPLIT: 0
	.section	.text._Z16warp_load_kernelILj256ELj8ELj64ELN6hipcub17WarpLoadAlgorithmE3EiEvPT3_S3_,"axG",@progbits,_Z16warp_load_kernelILj256ELj8ELj64ELN6hipcub17WarpLoadAlgorithmE3EiEvPT3_S3_,comdat
	.protected	_Z16warp_load_kernelILj256ELj8ELj64ELN6hipcub17WarpLoadAlgorithmE3EiEvPT3_S3_ ; -- Begin function _Z16warp_load_kernelILj256ELj8ELj64ELN6hipcub17WarpLoadAlgorithmE3EiEvPT3_S3_
	.globl	_Z16warp_load_kernelILj256ELj8ELj64ELN6hipcub17WarpLoadAlgorithmE3EiEvPT3_S3_
	.p2align	8
	.type	_Z16warp_load_kernelILj256ELj8ELj64ELN6hipcub17WarpLoadAlgorithmE3EiEvPT3_S3_,@function
_Z16warp_load_kernelILj256ELj8ELj64ELN6hipcub17WarpLoadAlgorithmE3EiEvPT3_S3_: ; @_Z16warp_load_kernelILj256ELj8ELj64ELN6hipcub17WarpLoadAlgorithmE3EiEvPT3_S3_
; %bb.0:
	s_load_dwordx4 s[4:7], s[0:1], 0x0
	v_lshrrev_b32_e32 v8, 6, v0
	v_mbcnt_lo_u32_b32 v1, -1, 0
	s_lshl_b32 s0, s2, 11
	v_mbcnt_hi_u32_b32 v1, -1, v1
	s_waitcnt lgkmcnt(0)
	v_mov_b32_e32 v2, s4
	v_mov_b32_e32 v3, s5
	v_lshl_or_b32 v4, v8, 9, s0
	v_mov_b32_e32 v5, 0
	v_lshl_add_u64 v[2:3], v[4:5], 2, v[2:3]
	v_lshlrev_b32_e32 v4, 2, v1
	v_lshlrev_b32_e32 v10, 5, v1
	v_lshl_add_u64 v[2:3], v[2:3], 0, v[4:5]
	v_and_b32_e32 v6, 0x800, v10
	v_mov_b32_e32 v7, v5
	v_lshl_add_u64 v[2:3], v[2:3], 0, v[6:7]
	global_load_dword v14, v[2:3], off
	global_load_dword v15, v[2:3], off offset:256
	global_load_dword v16, v[2:3], off offset:512
	;; [unrolled: 1-line block ×7, first 2 shown]
	v_lshlrev_b32_e32 v2, 11, v8
	v_add_u32_e32 v22, v2, v10
	v_or_b32_e32 v2, v2, v4
	v_or_b32_e32 v4, s0, v0
	v_mov_b32_e32 v1, v5
	v_or_b32_e32 v0, 0x400, v4
	v_lshl_add_u64 v[12:13], v[0:1], 2, s[6:7]
	v_lshl_add_u64 v[10:11], v[4:5], 2, s[6:7]
	v_or_b32_e32 v6, 0x500, v4
	v_or_b32_e32 v8, 0x600, v4
	;; [unrolled: 1-line block ×3, first 2 shown]
	v_mov_b32_e32 v9, v5
	v_lshl_add_u64 v[8:9], v[8:9], 2, s[6:7]
	s_waitcnt vmcnt(6)
	ds_write2st64_b32 v2, v14, v15 offset1:1
	s_waitcnt vmcnt(4)
	ds_write2st64_b32 v2, v16, v17 offset0:2 offset1:3
	s_waitcnt vmcnt(2)
	ds_write2st64_b32 v2, v18, v19 offset0:4 offset1:5
	;; [unrolled: 2-line block ×3, first 2 shown]
	; wave barrier
	ds_read_b128 v[0:3], v22
	v_lshl_add_u64 v[14:15], v[6:7], 2, s[6:7]
	v_lshl_add_u64 v[16:17], v[4:5], 2, s[6:7]
	ds_read_b128 v[4:7], v22 offset:16
	s_waitcnt lgkmcnt(1)
	global_store_dword v[10:11], v0, off
	global_store_dword v[10:11], v1, off offset:1024
	global_store_dword v[10:11], v2, off offset:2048
	;; [unrolled: 1-line block ×3, first 2 shown]
	s_waitcnt lgkmcnt(0)
	global_store_dword v[12:13], v4, off
	global_store_dword v[14:15], v5, off
	global_store_dword v[8:9], v6, off
	global_store_dword v[16:17], v7, off
	s_endpgm
	.section	.rodata,"a",@progbits
	.p2align	6, 0x0
	.amdhsa_kernel _Z16warp_load_kernelILj256ELj8ELj64ELN6hipcub17WarpLoadAlgorithmE3EiEvPT3_S3_
		.amdhsa_group_segment_fixed_size 8192
		.amdhsa_private_segment_fixed_size 0
		.amdhsa_kernarg_size 16
		.amdhsa_user_sgpr_count 2
		.amdhsa_user_sgpr_dispatch_ptr 0
		.amdhsa_user_sgpr_queue_ptr 0
		.amdhsa_user_sgpr_kernarg_segment_ptr 1
		.amdhsa_user_sgpr_dispatch_id 0
		.amdhsa_user_sgpr_kernarg_preload_length 0
		.amdhsa_user_sgpr_kernarg_preload_offset 0
		.amdhsa_user_sgpr_private_segment_size 0
		.amdhsa_uses_dynamic_stack 0
		.amdhsa_enable_private_segment 0
		.amdhsa_system_sgpr_workgroup_id_x 1
		.amdhsa_system_sgpr_workgroup_id_y 0
		.amdhsa_system_sgpr_workgroup_id_z 0
		.amdhsa_system_sgpr_workgroup_info 0
		.amdhsa_system_vgpr_workitem_id 0
		.amdhsa_next_free_vgpr 23
		.amdhsa_next_free_sgpr 8
		.amdhsa_accum_offset 24
		.amdhsa_reserve_vcc 0
		.amdhsa_float_round_mode_32 0
		.amdhsa_float_round_mode_16_64 0
		.amdhsa_float_denorm_mode_32 3
		.amdhsa_float_denorm_mode_16_64 3
		.amdhsa_dx10_clamp 1
		.amdhsa_ieee_mode 1
		.amdhsa_fp16_overflow 0
		.amdhsa_tg_split 0
		.amdhsa_exception_fp_ieee_invalid_op 0
		.amdhsa_exception_fp_denorm_src 0
		.amdhsa_exception_fp_ieee_div_zero 0
		.amdhsa_exception_fp_ieee_overflow 0
		.amdhsa_exception_fp_ieee_underflow 0
		.amdhsa_exception_fp_ieee_inexact 0
		.amdhsa_exception_int_div_zero 0
	.end_amdhsa_kernel
	.section	.text._Z16warp_load_kernelILj256ELj8ELj64ELN6hipcub17WarpLoadAlgorithmE3EiEvPT3_S3_,"axG",@progbits,_Z16warp_load_kernelILj256ELj8ELj64ELN6hipcub17WarpLoadAlgorithmE3EiEvPT3_S3_,comdat
.Lfunc_end44:
	.size	_Z16warp_load_kernelILj256ELj8ELj64ELN6hipcub17WarpLoadAlgorithmE3EiEvPT3_S3_, .Lfunc_end44-_Z16warp_load_kernelILj256ELj8ELj64ELN6hipcub17WarpLoadAlgorithmE3EiEvPT3_S3_
                                        ; -- End function
	.section	.AMDGPU.csdata,"",@progbits
; Kernel info:
; codeLenInByte = 400
; NumSgprs: 14
; NumVgprs: 23
; NumAgprs: 0
; TotalNumVgprs: 23
; ScratchSize: 0
; MemoryBound: 0
; FloatMode: 240
; IeeeMode: 1
; LDSByteSize: 8192 bytes/workgroup (compile time only)
; SGPRBlocks: 1
; VGPRBlocks: 2
; NumSGPRsForWavesPerEU: 14
; NumVGPRsForWavesPerEU: 23
; AccumOffset: 24
; Occupancy: 8
; WaveLimiterHint : 1
; COMPUTE_PGM_RSRC2:SCRATCH_EN: 0
; COMPUTE_PGM_RSRC2:USER_SGPR: 2
; COMPUTE_PGM_RSRC2:TRAP_HANDLER: 0
; COMPUTE_PGM_RSRC2:TGID_X_EN: 1
; COMPUTE_PGM_RSRC2:TGID_Y_EN: 0
; COMPUTE_PGM_RSRC2:TGID_Z_EN: 0
; COMPUTE_PGM_RSRC2:TIDIG_COMP_CNT: 0
; COMPUTE_PGM_RSRC3_GFX90A:ACCUM_OFFSET: 5
; COMPUTE_PGM_RSRC3_GFX90A:TG_SPLIT: 0
	.section	.text._Z16warp_load_kernelILj256ELj16ELj64ELN6hipcub17WarpLoadAlgorithmE0EiEvPT3_S3_,"axG",@progbits,_Z16warp_load_kernelILj256ELj16ELj64ELN6hipcub17WarpLoadAlgorithmE0EiEvPT3_S3_,comdat
	.protected	_Z16warp_load_kernelILj256ELj16ELj64ELN6hipcub17WarpLoadAlgorithmE0EiEvPT3_S3_ ; -- Begin function _Z16warp_load_kernelILj256ELj16ELj64ELN6hipcub17WarpLoadAlgorithmE0EiEvPT3_S3_
	.globl	_Z16warp_load_kernelILj256ELj16ELj64ELN6hipcub17WarpLoadAlgorithmE0EiEvPT3_S3_
	.p2align	8
	.type	_Z16warp_load_kernelILj256ELj16ELj64ELN6hipcub17WarpLoadAlgorithmE0EiEvPT3_S3_,@function
_Z16warp_load_kernelILj256ELj16ELj64ELN6hipcub17WarpLoadAlgorithmE0EiEvPT3_S3_: ; @_Z16warp_load_kernelILj256ELj16ELj64ELN6hipcub17WarpLoadAlgorithmE0EiEvPT3_S3_
; %bb.0:
	s_load_dwordx4 s[4:7], s[0:1], 0x0
	v_lshlrev_b32_e32 v4, 4, v0
	v_mbcnt_lo_u32_b32 v1, -1, 0
	s_lshl_b32 s0, s2, 12
	v_and_b32_e32 v4, 0xc00, v4
	s_waitcnt lgkmcnt(0)
	v_mov_b32_e32 v2, s4
	v_mov_b32_e32 v3, s5
	v_mbcnt_hi_u32_b32 v1, -1, v1
	v_or_b32_e32 v18, s0, v4
	v_mov_b32_e32 v19, 0
	v_lshl_add_u64 v[2:3], v[18:19], 2, v[2:3]
	v_lshlrev_b32_e32 v18, 6, v1
	v_lshl_add_u64 v[20:21], v[2:3], 0, v[18:19]
	global_load_dwordx4 v[2:5], v[20:21], off
	global_load_dwordx4 v[6:9], v[20:21], off offset:16
	global_load_dwordx4 v[10:13], v[20:21], off offset:32
	;; [unrolled: 1-line block ×3, first 2 shown]
	v_or_b32_e32 v18, s0, v0
	v_mov_b32_e32 v1, v19
	v_mov_b32_e32 v21, v19
	;; [unrolled: 1-line block ×11, first 2 shown]
	v_lshl_add_u64 v[40:41], v[18:19], 2, s[6:7]
	v_or_b32_e32 v0, 0x400, v18
	v_or_b32_e32 v20, 0x500, v18
	;; [unrolled: 1-line block ×12, first 2 shown]
	v_lshl_add_u64 v[0:1], v[0:1], 2, s[6:7]
	v_lshl_add_u64 v[20:21], v[20:21], 2, s[6:7]
	;; [unrolled: 1-line block ×12, first 2 shown]
	s_waitcnt vmcnt(3)
	global_store_dword v[40:41], v2, off
	global_store_dword v[40:41], v3, off offset:1024
	global_store_dword v[40:41], v4, off offset:2048
	;; [unrolled: 1-line block ×3, first 2 shown]
	s_waitcnt vmcnt(6)
	global_store_dword v[0:1], v6, off
	global_store_dword v[20:21], v7, off
	global_store_dword v[22:23], v8, off
	global_store_dword v[24:25], v9, off
	s_waitcnt vmcnt(9)
	global_store_dword v[26:27], v10, off
	global_store_dword v[28:29], v11, off
	global_store_dword v[30:31], v12, off
	global_store_dword v[32:33], v13, off
	;; [unrolled: 5-line block ×3, first 2 shown]
	s_endpgm
	.section	.rodata,"a",@progbits
	.p2align	6, 0x0
	.amdhsa_kernel _Z16warp_load_kernelILj256ELj16ELj64ELN6hipcub17WarpLoadAlgorithmE0EiEvPT3_S3_
		.amdhsa_group_segment_fixed_size 0
		.amdhsa_private_segment_fixed_size 0
		.amdhsa_kernarg_size 16
		.amdhsa_user_sgpr_count 2
		.amdhsa_user_sgpr_dispatch_ptr 0
		.amdhsa_user_sgpr_queue_ptr 0
		.amdhsa_user_sgpr_kernarg_segment_ptr 1
		.amdhsa_user_sgpr_dispatch_id 0
		.amdhsa_user_sgpr_kernarg_preload_length 0
		.amdhsa_user_sgpr_kernarg_preload_offset 0
		.amdhsa_user_sgpr_private_segment_size 0
		.amdhsa_uses_dynamic_stack 0
		.amdhsa_enable_private_segment 0
		.amdhsa_system_sgpr_workgroup_id_x 1
		.amdhsa_system_sgpr_workgroup_id_y 0
		.amdhsa_system_sgpr_workgroup_id_z 0
		.amdhsa_system_sgpr_workgroup_info 0
		.amdhsa_system_vgpr_workitem_id 0
		.amdhsa_next_free_vgpr 42
		.amdhsa_next_free_sgpr 8
		.amdhsa_accum_offset 44
		.amdhsa_reserve_vcc 0
		.amdhsa_float_round_mode_32 0
		.amdhsa_float_round_mode_16_64 0
		.amdhsa_float_denorm_mode_32 3
		.amdhsa_float_denorm_mode_16_64 3
		.amdhsa_dx10_clamp 1
		.amdhsa_ieee_mode 1
		.amdhsa_fp16_overflow 0
		.amdhsa_tg_split 0
		.amdhsa_exception_fp_ieee_invalid_op 0
		.amdhsa_exception_fp_denorm_src 0
		.amdhsa_exception_fp_ieee_div_zero 0
		.amdhsa_exception_fp_ieee_overflow 0
		.amdhsa_exception_fp_ieee_underflow 0
		.amdhsa_exception_fp_ieee_inexact 0
		.amdhsa_exception_int_div_zero 0
	.end_amdhsa_kernel
	.section	.text._Z16warp_load_kernelILj256ELj16ELj64ELN6hipcub17WarpLoadAlgorithmE0EiEvPT3_S3_,"axG",@progbits,_Z16warp_load_kernelILj256ELj16ELj64ELN6hipcub17WarpLoadAlgorithmE0EiEvPT3_S3_,comdat
.Lfunc_end45:
	.size	_Z16warp_load_kernelILj256ELj16ELj64ELN6hipcub17WarpLoadAlgorithmE0EiEvPT3_S3_, .Lfunc_end45-_Z16warp_load_kernelILj256ELj16ELj64ELN6hipcub17WarpLoadAlgorithmE0EiEvPT3_S3_
                                        ; -- End function
	.section	.AMDGPU.csdata,"",@progbits
; Kernel info:
; codeLenInByte = 508
; NumSgprs: 14
; NumVgprs: 42
; NumAgprs: 0
; TotalNumVgprs: 42
; ScratchSize: 0
; MemoryBound: 0
; FloatMode: 240
; IeeeMode: 1
; LDSByteSize: 0 bytes/workgroup (compile time only)
; SGPRBlocks: 1
; VGPRBlocks: 5
; NumSGPRsForWavesPerEU: 14
; NumVGPRsForWavesPerEU: 42
; AccumOffset: 44
; Occupancy: 8
; WaveLimiterHint : 1
; COMPUTE_PGM_RSRC2:SCRATCH_EN: 0
; COMPUTE_PGM_RSRC2:USER_SGPR: 2
; COMPUTE_PGM_RSRC2:TRAP_HANDLER: 0
; COMPUTE_PGM_RSRC2:TGID_X_EN: 1
; COMPUTE_PGM_RSRC2:TGID_Y_EN: 0
; COMPUTE_PGM_RSRC2:TGID_Z_EN: 0
; COMPUTE_PGM_RSRC2:TIDIG_COMP_CNT: 0
; COMPUTE_PGM_RSRC3_GFX90A:ACCUM_OFFSET: 10
; COMPUTE_PGM_RSRC3_GFX90A:TG_SPLIT: 0
	.section	.text._Z16warp_load_kernelILj256ELj16ELj64ELN6hipcub17WarpLoadAlgorithmE1EiEvPT3_S3_,"axG",@progbits,_Z16warp_load_kernelILj256ELj16ELj64ELN6hipcub17WarpLoadAlgorithmE1EiEvPT3_S3_,comdat
	.protected	_Z16warp_load_kernelILj256ELj16ELj64ELN6hipcub17WarpLoadAlgorithmE1EiEvPT3_S3_ ; -- Begin function _Z16warp_load_kernelILj256ELj16ELj64ELN6hipcub17WarpLoadAlgorithmE1EiEvPT3_S3_
	.globl	_Z16warp_load_kernelILj256ELj16ELj64ELN6hipcub17WarpLoadAlgorithmE1EiEvPT3_S3_
	.p2align	8
	.type	_Z16warp_load_kernelILj256ELj16ELj64ELN6hipcub17WarpLoadAlgorithmE1EiEvPT3_S3_,@function
_Z16warp_load_kernelILj256ELj16ELj64ELN6hipcub17WarpLoadAlgorithmE1EiEvPT3_S3_: ; @_Z16warp_load_kernelILj256ELj16ELj64ELN6hipcub17WarpLoadAlgorithmE1EiEvPT3_S3_
; %bb.0:
	s_load_dwordx4 s[4:7], s[0:1], 0x0
	v_lshlrev_b32_e32 v4, 4, v0
	v_mbcnt_lo_u32_b32 v1, -1, 0
	s_lshl_b32 s0, s2, 12
	v_and_b32_e32 v4, 0xc00, v4
	s_waitcnt lgkmcnt(0)
	v_mov_b32_e32 v2, s4
	v_mov_b32_e32 v3, s5
	v_mbcnt_hi_u32_b32 v1, -1, v1
	v_or_b32_e32 v4, s0, v4
	v_mov_b32_e32 v5, 0
	v_lshl_add_u64 v[2:3], v[4:5], 2, v[2:3]
	v_lshlrev_b32_e32 v4, 2, v1
	v_lshlrev_b32_e32 v1, 6, v1
	v_lshl_add_u64 v[2:3], v[2:3], 0, v[4:5]
	v_and_b32_e32 v4, 0x1000, v1
	v_lshl_add_u64 v[2:3], v[2:3], 0, v[4:5]
	global_load_dword v26, v[2:3], off
	global_load_dword v27, v[2:3], off offset:256
	global_load_dword v28, v[2:3], off offset:512
	;; [unrolled: 1-line block ×15, first 2 shown]
	v_or_b32_e32 v4, s0, v0
	v_mov_b32_e32 v1, v5
	v_mov_b32_e32 v3, v5
	;; [unrolled: 1-line block ×11, first 2 shown]
	v_lshl_add_u64 v[24:25], v[4:5], 2, s[6:7]
	v_or_b32_e32 v0, 0x400, v4
	v_or_b32_e32 v2, 0x500, v4
	v_or_b32_e32 v6, 0x600, v4
	v_or_b32_e32 v8, 0x700, v4
	v_or_b32_e32 v10, 0x800, v4
	v_or_b32_e32 v12, 0x900, v4
	v_or_b32_e32 v14, 0xa00, v4
	v_or_b32_e32 v16, 0xb00, v4
	v_or_b32_e32 v18, 0xc00, v4
	v_or_b32_e32 v20, 0xd00, v4
	v_or_b32_e32 v22, 0xe00, v4
	v_or_b32_e32 v4, 0xf00, v4
	v_lshl_add_u64 v[0:1], v[0:1], 2, s[6:7]
	v_lshl_add_u64 v[2:3], v[2:3], 2, s[6:7]
	;; [unrolled: 1-line block ×12, first 2 shown]
	s_waitcnt vmcnt(15)
	global_store_dword v[24:25], v26, off
	s_waitcnt vmcnt(15)
	global_store_dword v[24:25], v27, off offset:1024
	s_waitcnt vmcnt(15)
	global_store_dword v[24:25], v28, off offset:2048
	;; [unrolled: 2-line block ×3, first 2 shown]
	s_waitcnt vmcnt(15)
	global_store_dword v[0:1], v30, off
	s_waitcnt vmcnt(15)
	global_store_dword v[2:3], v31, off
	;; [unrolled: 2-line block ×12, first 2 shown]
	s_endpgm
	.section	.rodata,"a",@progbits
	.p2align	6, 0x0
	.amdhsa_kernel _Z16warp_load_kernelILj256ELj16ELj64ELN6hipcub17WarpLoadAlgorithmE1EiEvPT3_S3_
		.amdhsa_group_segment_fixed_size 0
		.amdhsa_private_segment_fixed_size 0
		.amdhsa_kernarg_size 16
		.amdhsa_user_sgpr_count 2
		.amdhsa_user_sgpr_dispatch_ptr 0
		.amdhsa_user_sgpr_queue_ptr 0
		.amdhsa_user_sgpr_kernarg_segment_ptr 1
		.amdhsa_user_sgpr_dispatch_id 0
		.amdhsa_user_sgpr_kernarg_preload_length 0
		.amdhsa_user_sgpr_kernarg_preload_offset 0
		.amdhsa_user_sgpr_private_segment_size 0
		.amdhsa_uses_dynamic_stack 0
		.amdhsa_enable_private_segment 0
		.amdhsa_system_sgpr_workgroup_id_x 1
		.amdhsa_system_sgpr_workgroup_id_y 0
		.amdhsa_system_sgpr_workgroup_id_z 0
		.amdhsa_system_sgpr_workgroup_info 0
		.amdhsa_system_vgpr_workitem_id 0
		.amdhsa_next_free_vgpr 42
		.amdhsa_next_free_sgpr 8
		.amdhsa_accum_offset 44
		.amdhsa_reserve_vcc 0
		.amdhsa_float_round_mode_32 0
		.amdhsa_float_round_mode_16_64 0
		.amdhsa_float_denorm_mode_32 3
		.amdhsa_float_denorm_mode_16_64 3
		.amdhsa_dx10_clamp 1
		.amdhsa_ieee_mode 1
		.amdhsa_fp16_overflow 0
		.amdhsa_tg_split 0
		.amdhsa_exception_fp_ieee_invalid_op 0
		.amdhsa_exception_fp_denorm_src 0
		.amdhsa_exception_fp_ieee_div_zero 0
		.amdhsa_exception_fp_ieee_overflow 0
		.amdhsa_exception_fp_ieee_underflow 0
		.amdhsa_exception_fp_ieee_inexact 0
		.amdhsa_exception_int_div_zero 0
	.end_amdhsa_kernel
	.section	.text._Z16warp_load_kernelILj256ELj16ELj64ELN6hipcub17WarpLoadAlgorithmE1EiEvPT3_S3_,"axG",@progbits,_Z16warp_load_kernelILj256ELj16ELj64ELN6hipcub17WarpLoadAlgorithmE1EiEvPT3_S3_,comdat
.Lfunc_end46:
	.size	_Z16warp_load_kernelILj256ELj16ELj64ELN6hipcub17WarpLoadAlgorithmE1EiEvPT3_S3_, .Lfunc_end46-_Z16warp_load_kernelILj256ELj16ELj64ELN6hipcub17WarpLoadAlgorithmE1EiEvPT3_S3_
                                        ; -- End function
	.section	.AMDGPU.csdata,"",@progbits
; Kernel info:
; codeLenInByte = 672
; NumSgprs: 14
; NumVgprs: 42
; NumAgprs: 0
; TotalNumVgprs: 42
; ScratchSize: 0
; MemoryBound: 0
; FloatMode: 240
; IeeeMode: 1
; LDSByteSize: 0 bytes/workgroup (compile time only)
; SGPRBlocks: 1
; VGPRBlocks: 5
; NumSGPRsForWavesPerEU: 14
; NumVGPRsForWavesPerEU: 42
; AccumOffset: 44
; Occupancy: 8
; WaveLimiterHint : 1
; COMPUTE_PGM_RSRC2:SCRATCH_EN: 0
; COMPUTE_PGM_RSRC2:USER_SGPR: 2
; COMPUTE_PGM_RSRC2:TRAP_HANDLER: 0
; COMPUTE_PGM_RSRC2:TGID_X_EN: 1
; COMPUTE_PGM_RSRC2:TGID_Y_EN: 0
; COMPUTE_PGM_RSRC2:TGID_Z_EN: 0
; COMPUTE_PGM_RSRC2:TIDIG_COMP_CNT: 0
; COMPUTE_PGM_RSRC3_GFX90A:ACCUM_OFFSET: 10
; COMPUTE_PGM_RSRC3_GFX90A:TG_SPLIT: 0
	.section	.text._Z16warp_load_kernelILj256ELj16ELj64ELN6hipcub17WarpLoadAlgorithmE2EiEvPT3_S3_,"axG",@progbits,_Z16warp_load_kernelILj256ELj16ELj64ELN6hipcub17WarpLoadAlgorithmE2EiEvPT3_S3_,comdat
	.protected	_Z16warp_load_kernelILj256ELj16ELj64ELN6hipcub17WarpLoadAlgorithmE2EiEvPT3_S3_ ; -- Begin function _Z16warp_load_kernelILj256ELj16ELj64ELN6hipcub17WarpLoadAlgorithmE2EiEvPT3_S3_
	.globl	_Z16warp_load_kernelILj256ELj16ELj64ELN6hipcub17WarpLoadAlgorithmE2EiEvPT3_S3_
	.p2align	8
	.type	_Z16warp_load_kernelILj256ELj16ELj64ELN6hipcub17WarpLoadAlgorithmE2EiEvPT3_S3_,@function
_Z16warp_load_kernelILj256ELj16ELj64ELN6hipcub17WarpLoadAlgorithmE2EiEvPT3_S3_: ; @_Z16warp_load_kernelILj256ELj16ELj64ELN6hipcub17WarpLoadAlgorithmE2EiEvPT3_S3_
; %bb.0:
	s_load_dwordx4 s[4:7], s[0:1], 0x0
	v_lshlrev_b32_e32 v4, 4, v0
	v_mbcnt_lo_u32_b32 v1, -1, 0
	s_lshl_b32 s0, s2, 12
	v_and_b32_e32 v4, 0xc00, v4
	s_waitcnt lgkmcnt(0)
	v_mov_b32_e32 v2, s4
	v_mov_b32_e32 v3, s5
	v_mbcnt_hi_u32_b32 v1, -1, v1
	v_or_b32_e32 v18, s0, v4
	v_mov_b32_e32 v19, 0
	v_lshl_add_u64 v[2:3], v[18:19], 2, v[2:3]
	v_lshlrev_b32_e32 v18, 6, v1
	v_lshl_add_u64 v[20:21], v[2:3], 0, v[18:19]
	global_load_dwordx4 v[2:5], v[20:21], off
	global_load_dwordx4 v[6:9], v[20:21], off offset:16
	global_load_dwordx4 v[10:13], v[20:21], off offset:32
	;; [unrolled: 1-line block ×3, first 2 shown]
	v_or_b32_e32 v18, s0, v0
	v_mov_b32_e32 v1, v19
	v_mov_b32_e32 v21, v19
	;; [unrolled: 1-line block ×11, first 2 shown]
	v_lshl_add_u64 v[40:41], v[18:19], 2, s[6:7]
	v_or_b32_e32 v0, 0x400, v18
	v_or_b32_e32 v20, 0x500, v18
	;; [unrolled: 1-line block ×12, first 2 shown]
	v_lshl_add_u64 v[0:1], v[0:1], 2, s[6:7]
	v_lshl_add_u64 v[20:21], v[20:21], 2, s[6:7]
	;; [unrolled: 1-line block ×12, first 2 shown]
	s_waitcnt vmcnt(3)
	global_store_dword v[40:41], v2, off
	global_store_dword v[40:41], v3, off offset:1024
	global_store_dword v[40:41], v4, off offset:2048
	;; [unrolled: 1-line block ×3, first 2 shown]
	s_waitcnt vmcnt(6)
	global_store_dword v[0:1], v6, off
	global_store_dword v[20:21], v7, off
	global_store_dword v[22:23], v8, off
	global_store_dword v[24:25], v9, off
	s_waitcnt vmcnt(9)
	global_store_dword v[26:27], v10, off
	global_store_dword v[28:29], v11, off
	global_store_dword v[30:31], v12, off
	global_store_dword v[32:33], v13, off
	;; [unrolled: 5-line block ×3, first 2 shown]
	s_endpgm
	.section	.rodata,"a",@progbits
	.p2align	6, 0x0
	.amdhsa_kernel _Z16warp_load_kernelILj256ELj16ELj64ELN6hipcub17WarpLoadAlgorithmE2EiEvPT3_S3_
		.amdhsa_group_segment_fixed_size 0
		.amdhsa_private_segment_fixed_size 0
		.amdhsa_kernarg_size 16
		.amdhsa_user_sgpr_count 2
		.amdhsa_user_sgpr_dispatch_ptr 0
		.amdhsa_user_sgpr_queue_ptr 0
		.amdhsa_user_sgpr_kernarg_segment_ptr 1
		.amdhsa_user_sgpr_dispatch_id 0
		.amdhsa_user_sgpr_kernarg_preload_length 0
		.amdhsa_user_sgpr_kernarg_preload_offset 0
		.amdhsa_user_sgpr_private_segment_size 0
		.amdhsa_uses_dynamic_stack 0
		.amdhsa_enable_private_segment 0
		.amdhsa_system_sgpr_workgroup_id_x 1
		.amdhsa_system_sgpr_workgroup_id_y 0
		.amdhsa_system_sgpr_workgroup_id_z 0
		.amdhsa_system_sgpr_workgroup_info 0
		.amdhsa_system_vgpr_workitem_id 0
		.amdhsa_next_free_vgpr 42
		.amdhsa_next_free_sgpr 8
		.amdhsa_accum_offset 44
		.amdhsa_reserve_vcc 0
		.amdhsa_float_round_mode_32 0
		.amdhsa_float_round_mode_16_64 0
		.amdhsa_float_denorm_mode_32 3
		.amdhsa_float_denorm_mode_16_64 3
		.amdhsa_dx10_clamp 1
		.amdhsa_ieee_mode 1
		.amdhsa_fp16_overflow 0
		.amdhsa_tg_split 0
		.amdhsa_exception_fp_ieee_invalid_op 0
		.amdhsa_exception_fp_denorm_src 0
		.amdhsa_exception_fp_ieee_div_zero 0
		.amdhsa_exception_fp_ieee_overflow 0
		.amdhsa_exception_fp_ieee_underflow 0
		.amdhsa_exception_fp_ieee_inexact 0
		.amdhsa_exception_int_div_zero 0
	.end_amdhsa_kernel
	.section	.text._Z16warp_load_kernelILj256ELj16ELj64ELN6hipcub17WarpLoadAlgorithmE2EiEvPT3_S3_,"axG",@progbits,_Z16warp_load_kernelILj256ELj16ELj64ELN6hipcub17WarpLoadAlgorithmE2EiEvPT3_S3_,comdat
.Lfunc_end47:
	.size	_Z16warp_load_kernelILj256ELj16ELj64ELN6hipcub17WarpLoadAlgorithmE2EiEvPT3_S3_, .Lfunc_end47-_Z16warp_load_kernelILj256ELj16ELj64ELN6hipcub17WarpLoadAlgorithmE2EiEvPT3_S3_
                                        ; -- End function
	.section	.AMDGPU.csdata,"",@progbits
; Kernel info:
; codeLenInByte = 508
; NumSgprs: 14
; NumVgprs: 42
; NumAgprs: 0
; TotalNumVgprs: 42
; ScratchSize: 0
; MemoryBound: 0
; FloatMode: 240
; IeeeMode: 1
; LDSByteSize: 0 bytes/workgroup (compile time only)
; SGPRBlocks: 1
; VGPRBlocks: 5
; NumSGPRsForWavesPerEU: 14
; NumVGPRsForWavesPerEU: 42
; AccumOffset: 44
; Occupancy: 8
; WaveLimiterHint : 1
; COMPUTE_PGM_RSRC2:SCRATCH_EN: 0
; COMPUTE_PGM_RSRC2:USER_SGPR: 2
; COMPUTE_PGM_RSRC2:TRAP_HANDLER: 0
; COMPUTE_PGM_RSRC2:TGID_X_EN: 1
; COMPUTE_PGM_RSRC2:TGID_Y_EN: 0
; COMPUTE_PGM_RSRC2:TGID_Z_EN: 0
; COMPUTE_PGM_RSRC2:TIDIG_COMP_CNT: 0
; COMPUTE_PGM_RSRC3_GFX90A:ACCUM_OFFSET: 10
; COMPUTE_PGM_RSRC3_GFX90A:TG_SPLIT: 0
	.section	.text._Z16warp_load_kernelILj256ELj16ELj64ELN6hipcub17WarpLoadAlgorithmE3EiEvPT3_S3_,"axG",@progbits,_Z16warp_load_kernelILj256ELj16ELj64ELN6hipcub17WarpLoadAlgorithmE3EiEvPT3_S3_,comdat
	.protected	_Z16warp_load_kernelILj256ELj16ELj64ELN6hipcub17WarpLoadAlgorithmE3EiEvPT3_S3_ ; -- Begin function _Z16warp_load_kernelILj256ELj16ELj64ELN6hipcub17WarpLoadAlgorithmE3EiEvPT3_S3_
	.globl	_Z16warp_load_kernelILj256ELj16ELj64ELN6hipcub17WarpLoadAlgorithmE3EiEvPT3_S3_
	.p2align	8
	.type	_Z16warp_load_kernelILj256ELj16ELj64ELN6hipcub17WarpLoadAlgorithmE3EiEvPT3_S3_,@function
_Z16warp_load_kernelILj256ELj16ELj64ELN6hipcub17WarpLoadAlgorithmE3EiEvPT3_S3_: ; @_Z16warp_load_kernelILj256ELj16ELj64ELN6hipcub17WarpLoadAlgorithmE3EiEvPT3_S3_
; %bb.0:
	s_load_dwordx4 s[4:7], s[0:1], 0x0
	v_lshrrev_b32_e32 v6, 6, v0
	v_mbcnt_lo_u32_b32 v1, -1, 0
	s_lshl_b32 s0, s2, 12
	v_mbcnt_hi_u32_b32 v1, -1, v1
	s_waitcnt lgkmcnt(0)
	v_mov_b32_e32 v2, s4
	v_mov_b32_e32 v3, s5
	v_lshl_or_b32 v16, v6, 10, s0
	v_mov_b32_e32 v17, 0
	v_lshl_add_u64 v[2:3], v[16:17], 2, v[2:3]
	v_lshlrev_b32_e32 v16, 2, v1
	v_lshlrev_b32_e32 v8, 6, v1
	v_lshl_add_u64 v[2:3], v[2:3], 0, v[16:17]
	v_and_b32_e32 v4, 0x1000, v8
	v_mov_b32_e32 v5, v17
	v_lshl_add_u64 v[2:3], v[2:3], 0, v[4:5]
	global_load_dword v40, v[2:3], off
	global_load_dword v41, v[2:3], off offset:256
	global_load_dword v42, v[2:3], off offset:512
	;; [unrolled: 1-line block ×15, first 2 shown]
	v_lshlrev_b32_e32 v2, 12, v6
	v_or_b32_e32 v57, v2, v16
	v_or_b32_e32 v16, s0, v0
	v_mov_b32_e32 v1, v17
	v_mov_b32_e32 v3, v17
	;; [unrolled: 1-line block ×7, first 2 shown]
	v_add_u32_e32 v56, v2, v8
	v_or_b32_e32 v0, 0x400, v16
	v_or_b32_e32 v2, 0x500, v16
	;; [unrolled: 1-line block ×8, first 2 shown]
	v_lshl_add_u64 v[24:25], v[0:1], 2, s[6:7]
	v_lshl_add_u64 v[26:27], v[2:3], 2, s[6:7]
	;; [unrolled: 1-line block ×8, first 2 shown]
	v_mov_b32_e32 v19, v17
	v_mov_b32_e32 v21, v17
	v_lshl_add_u64 v[22:23], v[16:17], 2, s[6:7]
	v_or_b32_e32 v18, 0xc00, v16
	v_or_b32_e32 v20, 0xd00, v16
	v_lshl_add_u64 v[18:19], v[18:19], 2, s[6:7]
	s_waitcnt vmcnt(14)
	ds_write2st64_b32 v57, v40, v41 offset1:1
	s_waitcnt vmcnt(12)
	ds_write2st64_b32 v57, v42, v43 offset0:2 offset1:3
	s_waitcnt vmcnt(10)
	ds_write2st64_b32 v57, v44, v45 offset0:4 offset1:5
	;; [unrolled: 2-line block ×7, first 2 shown]
	; wave barrier
	ds_read_b128 v[0:3], v56
	ds_read_b128 v[4:7], v56 offset:16
	ds_read_b128 v[8:11], v56 offset:32
	;; [unrolled: 1-line block ×3, first 2 shown]
	s_waitcnt lgkmcnt(3)
	global_store_dword v[22:23], v0, off
	global_store_dword v[22:23], v1, off offset:1024
	global_store_dword v[22:23], v2, off offset:2048
	global_store_dword v[22:23], v3, off offset:3072
	s_waitcnt lgkmcnt(2)
	global_store_dword v[24:25], v4, off
	global_store_dword v[26:27], v5, off
	;; [unrolled: 1-line block ×4, first 2 shown]
	s_waitcnt lgkmcnt(1)
	global_store_dword v[32:33], v8, off
	global_store_dword v[34:35], v9, off
	;; [unrolled: 1-line block ×4, first 2 shown]
	s_waitcnt lgkmcnt(0)
	global_store_dword v[18:19], v12, off
	v_lshl_add_u64 v[0:1], v[20:21], 2, s[6:7]
	global_store_dword v[0:1], v13, off
	v_or_b32_e32 v0, 0xe00, v16
	v_mov_b32_e32 v1, v17
	v_lshl_add_u64 v[0:1], v[0:1], 2, s[6:7]
	v_or_b32_e32 v16, 0xf00, v16
	global_store_dword v[0:1], v14, off
	v_lshl_add_u64 v[0:1], v[16:17], 2, s[6:7]
	global_store_dword v[0:1], v15, off
	s_endpgm
	.section	.rodata,"a",@progbits
	.p2align	6, 0x0
	.amdhsa_kernel _Z16warp_load_kernelILj256ELj16ELj64ELN6hipcub17WarpLoadAlgorithmE3EiEvPT3_S3_
		.amdhsa_group_segment_fixed_size 16384
		.amdhsa_private_segment_fixed_size 0
		.amdhsa_kernarg_size 16
		.amdhsa_user_sgpr_count 2
		.amdhsa_user_sgpr_dispatch_ptr 0
		.amdhsa_user_sgpr_queue_ptr 0
		.amdhsa_user_sgpr_kernarg_segment_ptr 1
		.amdhsa_user_sgpr_dispatch_id 0
		.amdhsa_user_sgpr_kernarg_preload_length 0
		.amdhsa_user_sgpr_kernarg_preload_offset 0
		.amdhsa_user_sgpr_private_segment_size 0
		.amdhsa_uses_dynamic_stack 0
		.amdhsa_enable_private_segment 0
		.amdhsa_system_sgpr_workgroup_id_x 1
		.amdhsa_system_sgpr_workgroup_id_y 0
		.amdhsa_system_sgpr_workgroup_id_z 0
		.amdhsa_system_sgpr_workgroup_info 0
		.amdhsa_system_vgpr_workitem_id 0
		.amdhsa_next_free_vgpr 58
		.amdhsa_next_free_sgpr 8
		.amdhsa_accum_offset 60
		.amdhsa_reserve_vcc 0
		.amdhsa_float_round_mode_32 0
		.amdhsa_float_round_mode_16_64 0
		.amdhsa_float_denorm_mode_32 3
		.amdhsa_float_denorm_mode_16_64 3
		.amdhsa_dx10_clamp 1
		.amdhsa_ieee_mode 1
		.amdhsa_fp16_overflow 0
		.amdhsa_tg_split 0
		.amdhsa_exception_fp_ieee_invalid_op 0
		.amdhsa_exception_fp_denorm_src 0
		.amdhsa_exception_fp_ieee_div_zero 0
		.amdhsa_exception_fp_ieee_overflow 0
		.amdhsa_exception_fp_ieee_underflow 0
		.amdhsa_exception_fp_ieee_inexact 0
		.amdhsa_exception_int_div_zero 0
	.end_amdhsa_kernel
	.section	.text._Z16warp_load_kernelILj256ELj16ELj64ELN6hipcub17WarpLoadAlgorithmE3EiEvPT3_S3_,"axG",@progbits,_Z16warp_load_kernelILj256ELj16ELj64ELN6hipcub17WarpLoadAlgorithmE3EiEvPT3_S3_,comdat
.Lfunc_end48:
	.size	_Z16warp_load_kernelILj256ELj16ELj64ELN6hipcub17WarpLoadAlgorithmE3EiEvPT3_S3_, .Lfunc_end48-_Z16warp_load_kernelILj256ELj16ELj64ELN6hipcub17WarpLoadAlgorithmE3EiEvPT3_S3_
                                        ; -- End function
	.section	.AMDGPU.csdata,"",@progbits
; Kernel info:
; codeLenInByte = 760
; NumSgprs: 14
; NumVgprs: 58
; NumAgprs: 0
; TotalNumVgprs: 58
; ScratchSize: 0
; MemoryBound: 1
; FloatMode: 240
; IeeeMode: 1
; LDSByteSize: 16384 bytes/workgroup (compile time only)
; SGPRBlocks: 1
; VGPRBlocks: 7
; NumSGPRsForWavesPerEU: 14
; NumVGPRsForWavesPerEU: 58
; AccumOffset: 60
; Occupancy: 4
; WaveLimiterHint : 1
; COMPUTE_PGM_RSRC2:SCRATCH_EN: 0
; COMPUTE_PGM_RSRC2:USER_SGPR: 2
; COMPUTE_PGM_RSRC2:TRAP_HANDLER: 0
; COMPUTE_PGM_RSRC2:TGID_X_EN: 1
; COMPUTE_PGM_RSRC2:TGID_Y_EN: 0
; COMPUTE_PGM_RSRC2:TGID_Z_EN: 0
; COMPUTE_PGM_RSRC2:TIDIG_COMP_CNT: 0
; COMPUTE_PGM_RSRC3_GFX90A:ACCUM_OFFSET: 14
; COMPUTE_PGM_RSRC3_GFX90A:TG_SPLIT: 0
	.section	.text._Z16warp_load_kernelILj256ELj32ELj64ELN6hipcub17WarpLoadAlgorithmE0EiEvPT3_S3_,"axG",@progbits,_Z16warp_load_kernelILj256ELj32ELj64ELN6hipcub17WarpLoadAlgorithmE0EiEvPT3_S3_,comdat
	.protected	_Z16warp_load_kernelILj256ELj32ELj64ELN6hipcub17WarpLoadAlgorithmE0EiEvPT3_S3_ ; -- Begin function _Z16warp_load_kernelILj256ELj32ELj64ELN6hipcub17WarpLoadAlgorithmE0EiEvPT3_S3_
	.globl	_Z16warp_load_kernelILj256ELj32ELj64ELN6hipcub17WarpLoadAlgorithmE0EiEvPT3_S3_
	.p2align	8
	.type	_Z16warp_load_kernelILj256ELj32ELj64ELN6hipcub17WarpLoadAlgorithmE0EiEvPT3_S3_,@function
_Z16warp_load_kernelILj256ELj32ELj64ELN6hipcub17WarpLoadAlgorithmE0EiEvPT3_S3_: ; @_Z16warp_load_kernelILj256ELj32ELj64ELN6hipcub17WarpLoadAlgorithmE0EiEvPT3_S3_
; %bb.0:
	s_load_dwordx4 s[4:7], s[0:1], 0x0
	v_lshlrev_b32_e32 v4, 5, v0
	v_mbcnt_lo_u32_b32 v1, -1, 0
	s_lshl_b32 s0, s2, 13
	v_and_b32_e32 v4, 0x1800, v4
	s_waitcnt lgkmcnt(0)
	v_mov_b32_e32 v2, s4
	v_mov_b32_e32 v3, s5
	v_mbcnt_hi_u32_b32 v1, -1, v1
	v_or_b32_e32 v34, s0, v4
	v_mov_b32_e32 v35, 0
	v_lshl_add_u64 v[2:3], v[34:35], 2, v[2:3]
	v_lshlrev_b32_e32 v34, 7, v1
	v_lshl_add_u64 v[36:37], v[2:3], 0, v[34:35]
	global_load_dwordx4 v[2:5], v[36:37], off
	global_load_dwordx4 v[6:9], v[36:37], off offset:16
	global_load_dwordx4 v[10:13], v[36:37], off offset:32
	;; [unrolled: 1-line block ×7, first 2 shown]
	v_or_b32_e32 v34, s0, v0
	v_mov_b32_e32 v1, v35
	v_lshl_add_u64 v[58:59], v[34:35], 2, s[6:7]
	v_or_b32_e32 v0, 0x400, v34
	v_mov_b32_e32 v39, v35
	v_mov_b32_e32 v41, v35
	;; [unrolled: 1-line block ×11, first 2 shown]
	v_or_b32_e32 v38, 0x500, v34
	v_or_b32_e32 v40, 0x600, v34
	;; [unrolled: 1-line block ×11, first 2 shown]
	v_lshl_add_u64 v[0:1], v[0:1], 2, s[6:7]
	v_lshl_add_u64 v[38:39], v[38:39], 2, s[6:7]
	;; [unrolled: 1-line block ×12, first 2 shown]
	s_waitcnt vmcnt(7)
	global_store_dword v[58:59], v2, off
	global_store_dword v[58:59], v3, off offset:1024
	global_store_dword v[58:59], v4, off offset:2048
	;; [unrolled: 1-line block ×3, first 2 shown]
	v_mov_b32_e32 v3, v35
	v_mov_b32_e32 v5, v35
	;; [unrolled: 1-line block ×3, first 2 shown]
	v_or_b32_e32 v2, 0x1000, v34
	v_or_b32_e32 v4, 0x1100, v34
	;; [unrolled: 1-line block ×3, first 2 shown]
	v_lshl_add_u64 v[2:3], v[2:3], 2, s[6:7]
	v_lshl_add_u64 v[4:5], v[4:5], 2, s[6:7]
	;; [unrolled: 1-line block ×3, first 2 shown]
	s_waitcnt vmcnt(10)
	global_store_dword v[0:1], v6, off
	global_store_dword v[38:39], v7, off
	global_store_dword v[40:41], v8, off
	global_store_dword v[42:43], v9, off
	s_waitcnt vmcnt(13)
	global_store_dword v[44:45], v10, off
	global_store_dword v[46:47], v11, off
	global_store_dword v[48:49], v12, off
	global_store_dword v[50:51], v13, off
	;; [unrolled: 5-line block ×3, first 2 shown]
	s_waitcnt vmcnt(19)
	global_store_dword v[2:3], v18, off
	global_store_dword v[4:5], v19, off
	;; [unrolled: 1-line block ×3, first 2 shown]
	v_or_b32_e32 v0, 0x1300, v34
	v_mov_b32_e32 v1, v35
	v_lshl_add_u64 v[0:1], v[0:1], 2, s[6:7]
	global_store_dword v[0:1], v21, off
	v_or_b32_e32 v0, 0x1400, v34
	v_mov_b32_e32 v1, v35
	v_lshl_add_u64 v[0:1], v[0:1], 2, s[6:7]
	s_waitcnt vmcnt(22)
	global_store_dword v[0:1], v22, off
	v_or_b32_e32 v0, 0x1500, v34
	v_mov_b32_e32 v1, v35
	v_lshl_add_u64 v[0:1], v[0:1], 2, s[6:7]
	global_store_dword v[0:1], v23, off
	v_or_b32_e32 v0, 0x1600, v34
	v_mov_b32_e32 v1, v35
	v_lshl_add_u64 v[0:1], v[0:1], 2, s[6:7]
	;; [unrolled: 4-line block ×4, first 2 shown]
	s_waitcnt vmcnt(24)
	global_store_dword v[0:1], v30, off
	v_or_b32_e32 v0, 0x1900, v34
	v_mov_b32_e32 v1, v35
	v_lshl_add_u64 v[0:1], v[0:1], 2, s[6:7]
	global_store_dword v[0:1], v31, off
	v_or_b32_e32 v0, 0x1a00, v34
	v_mov_b32_e32 v1, v35
	v_lshl_add_u64 v[0:1], v[0:1], 2, s[6:7]
	;; [unrolled: 4-line block ×6, first 2 shown]
	v_or_b32_e32 v34, 0x1f00, v34
	global_store_dword v[0:1], v28, off
	v_lshl_add_u64 v[0:1], v[34:35], 2, s[6:7]
	global_store_dword v[0:1], v29, off
	s_endpgm
	.section	.rodata,"a",@progbits
	.p2align	6, 0x0
	.amdhsa_kernel _Z16warp_load_kernelILj256ELj32ELj64ELN6hipcub17WarpLoadAlgorithmE0EiEvPT3_S3_
		.amdhsa_group_segment_fixed_size 0
		.amdhsa_private_segment_fixed_size 0
		.amdhsa_kernarg_size 16
		.amdhsa_user_sgpr_count 2
		.amdhsa_user_sgpr_dispatch_ptr 0
		.amdhsa_user_sgpr_queue_ptr 0
		.amdhsa_user_sgpr_kernarg_segment_ptr 1
		.amdhsa_user_sgpr_dispatch_id 0
		.amdhsa_user_sgpr_kernarg_preload_length 0
		.amdhsa_user_sgpr_kernarg_preload_offset 0
		.amdhsa_user_sgpr_private_segment_size 0
		.amdhsa_uses_dynamic_stack 0
		.amdhsa_enable_private_segment 0
		.amdhsa_system_sgpr_workgroup_id_x 1
		.amdhsa_system_sgpr_workgroup_id_y 0
		.amdhsa_system_sgpr_workgroup_id_z 0
		.amdhsa_system_sgpr_workgroup_info 0
		.amdhsa_system_vgpr_workitem_id 0
		.amdhsa_next_free_vgpr 60
		.amdhsa_next_free_sgpr 8
		.amdhsa_accum_offset 60
		.amdhsa_reserve_vcc 0
		.amdhsa_float_round_mode_32 0
		.amdhsa_float_round_mode_16_64 0
		.amdhsa_float_denorm_mode_32 3
		.amdhsa_float_denorm_mode_16_64 3
		.amdhsa_dx10_clamp 1
		.amdhsa_ieee_mode 1
		.amdhsa_fp16_overflow 0
		.amdhsa_tg_split 0
		.amdhsa_exception_fp_ieee_invalid_op 0
		.amdhsa_exception_fp_denorm_src 0
		.amdhsa_exception_fp_ieee_div_zero 0
		.amdhsa_exception_fp_ieee_overflow 0
		.amdhsa_exception_fp_ieee_underflow 0
		.amdhsa_exception_fp_ieee_inexact 0
		.amdhsa_exception_int_div_zero 0
	.end_amdhsa_kernel
	.section	.text._Z16warp_load_kernelILj256ELj32ELj64ELN6hipcub17WarpLoadAlgorithmE0EiEvPT3_S3_,"axG",@progbits,_Z16warp_load_kernelILj256ELj32ELj64ELN6hipcub17WarpLoadAlgorithmE0EiEvPT3_S3_,comdat
.Lfunc_end49:
	.size	_Z16warp_load_kernelILj256ELj32ELj64ELN6hipcub17WarpLoadAlgorithmE0EiEvPT3_S3_, .Lfunc_end49-_Z16warp_load_kernelILj256ELj32ELj64ELN6hipcub17WarpLoadAlgorithmE0EiEvPT3_S3_
                                        ; -- End function
	.section	.AMDGPU.csdata,"",@progbits
; Kernel info:
; codeLenInByte = 1000
; NumSgprs: 14
; NumVgprs: 60
; NumAgprs: 0
; TotalNumVgprs: 60
; ScratchSize: 0
; MemoryBound: 0
; FloatMode: 240
; IeeeMode: 1
; LDSByteSize: 0 bytes/workgroup (compile time only)
; SGPRBlocks: 1
; VGPRBlocks: 7
; NumSGPRsForWavesPerEU: 14
; NumVGPRsForWavesPerEU: 60
; AccumOffset: 60
; Occupancy: 8
; WaveLimiterHint : 1
; COMPUTE_PGM_RSRC2:SCRATCH_EN: 0
; COMPUTE_PGM_RSRC2:USER_SGPR: 2
; COMPUTE_PGM_RSRC2:TRAP_HANDLER: 0
; COMPUTE_PGM_RSRC2:TGID_X_EN: 1
; COMPUTE_PGM_RSRC2:TGID_Y_EN: 0
; COMPUTE_PGM_RSRC2:TGID_Z_EN: 0
; COMPUTE_PGM_RSRC2:TIDIG_COMP_CNT: 0
; COMPUTE_PGM_RSRC3_GFX90A:ACCUM_OFFSET: 14
; COMPUTE_PGM_RSRC3_GFX90A:TG_SPLIT: 0
	.section	.text._Z16warp_load_kernelILj256ELj32ELj64ELN6hipcub17WarpLoadAlgorithmE1EiEvPT3_S3_,"axG",@progbits,_Z16warp_load_kernelILj256ELj32ELj64ELN6hipcub17WarpLoadAlgorithmE1EiEvPT3_S3_,comdat
	.protected	_Z16warp_load_kernelILj256ELj32ELj64ELN6hipcub17WarpLoadAlgorithmE1EiEvPT3_S3_ ; -- Begin function _Z16warp_load_kernelILj256ELj32ELj64ELN6hipcub17WarpLoadAlgorithmE1EiEvPT3_S3_
	.globl	_Z16warp_load_kernelILj256ELj32ELj64ELN6hipcub17WarpLoadAlgorithmE1EiEvPT3_S3_
	.p2align	8
	.type	_Z16warp_load_kernelILj256ELj32ELj64ELN6hipcub17WarpLoadAlgorithmE1EiEvPT3_S3_,@function
_Z16warp_load_kernelILj256ELj32ELj64ELN6hipcub17WarpLoadAlgorithmE1EiEvPT3_S3_: ; @_Z16warp_load_kernelILj256ELj32ELj64ELN6hipcub17WarpLoadAlgorithmE1EiEvPT3_S3_
; %bb.0:
	s_load_dwordx4 s[4:7], s[0:1], 0x0
	v_lshlrev_b32_e32 v4, 5, v0
	v_mbcnt_lo_u32_b32 v1, -1, 0
	s_lshl_b32 s0, s2, 13
	v_and_b32_e32 v4, 0x1800, v4
	s_waitcnt lgkmcnt(0)
	v_mov_b32_e32 v2, s4
	v_mov_b32_e32 v3, s5
	v_mbcnt_hi_u32_b32 v1, -1, v1
	v_or_b32_e32 v4, s0, v4
	v_mov_b32_e32 v5, 0
	v_lshl_add_u64 v[2:3], v[4:5], 2, v[2:3]
	v_lshlrev_b32_e32 v4, 2, v1
	v_lshlrev_b32_e32 v1, 7, v1
	v_lshl_add_u64 v[2:3], v[2:3], 0, v[4:5]
	v_and_b32_e32 v4, 0x2000, v1
	v_lshl_add_u64 v[2:3], v[2:3], 0, v[4:5]
	global_load_dword v21, v[2:3], off
	global_load_dword v22, v[2:3], off offset:256
	global_load_dword v23, v[2:3], off offset:512
	;; [unrolled: 1-line block ×15, first 2 shown]
	s_movk_i32 s1, 0x1000
	v_add_co_u32_e32 v2, vcc, s1, v2
	v_or_b32_e32 v4, s0, v0
	s_nop 0
	v_addc_co_u32_e32 v3, vcc, 0, v3, vcc
	global_load_dword v37, v[2:3], off
	global_load_dword v38, v[2:3], off offset:256
	global_load_dword v39, v[2:3], off offset:512
	;; [unrolled: 1-line block ×15, first 2 shown]
	v_mov_b32_e32 v1, v5
	v_mov_b32_e32 v7, v5
	;; [unrolled: 1-line block ×7, first 2 shown]
	v_lshl_add_u64 v[18:19], v[4:5], 2, s[6:7]
	v_or_b32_e32 v0, 0x400, v4
	v_or_b32_e32 v6, 0x500, v4
	;; [unrolled: 1-line block ×8, first 2 shown]
	v_lshl_add_u64 v[0:1], v[0:1], 2, s[6:7]
	v_lshl_add_u64 v[2:3], v[6:7], 2, s[6:7]
	;; [unrolled: 1-line block ×7, first 2 shown]
	s_waitcnt vmcnt(31)
	global_store_dword v[18:19], v21, off
	s_waitcnt vmcnt(31)
	global_store_dword v[18:19], v22, off offset:1024
	s_waitcnt vmcnt(31)
	global_store_dword v[18:19], v23, off offset:2048
	;; [unrolled: 2-line block ×3, first 2 shown]
	s_waitcnt vmcnt(31)
	global_store_dword v[0:1], v25, off
	s_waitcnt vmcnt(31)
	global_store_dword v[2:3], v26, off
	;; [unrolled: 2-line block ×7, first 2 shown]
	v_mov_b32_e32 v21, v5
	v_lshl_add_u64 v[0:1], v[20:21], 2, s[6:7]
	s_waitcnt vmcnt(31)
	global_store_dword v[0:1], v32, off
	v_or_b32_e32 v0, 0xc00, v4
	v_mov_b32_e32 v1, v5
	v_lshl_add_u64 v[0:1], v[0:1], 2, s[6:7]
	s_waitcnt vmcnt(31)
	global_store_dword v[0:1], v33, off
	v_or_b32_e32 v0, 0xd00, v4
	;; [unrolled: 5-line block ×19, first 2 shown]
	v_mov_b32_e32 v1, v5
	v_lshl_add_u64 v[0:1], v[0:1], 2, s[6:7]
	v_or_b32_e32 v4, 0x1f00, v4
	s_waitcnt vmcnt(31)
	global_store_dword v[0:1], v51, off
	v_lshl_add_u64 v[0:1], v[4:5], 2, s[6:7]
	s_waitcnt vmcnt(31)
	global_store_dword v[0:1], v52, off
	s_endpgm
	.section	.rodata,"a",@progbits
	.p2align	6, 0x0
	.amdhsa_kernel _Z16warp_load_kernelILj256ELj32ELj64ELN6hipcub17WarpLoadAlgorithmE1EiEvPT3_S3_
		.amdhsa_group_segment_fixed_size 0
		.amdhsa_private_segment_fixed_size 0
		.amdhsa_kernarg_size 16
		.amdhsa_user_sgpr_count 2
		.amdhsa_user_sgpr_dispatch_ptr 0
		.amdhsa_user_sgpr_queue_ptr 0
		.amdhsa_user_sgpr_kernarg_segment_ptr 1
		.amdhsa_user_sgpr_dispatch_id 0
		.amdhsa_user_sgpr_kernarg_preload_length 0
		.amdhsa_user_sgpr_kernarg_preload_offset 0
		.amdhsa_user_sgpr_private_segment_size 0
		.amdhsa_uses_dynamic_stack 0
		.amdhsa_enable_private_segment 0
		.amdhsa_system_sgpr_workgroup_id_x 1
		.amdhsa_system_sgpr_workgroup_id_y 0
		.amdhsa_system_sgpr_workgroup_id_z 0
		.amdhsa_system_sgpr_workgroup_info 0
		.amdhsa_system_vgpr_workitem_id 0
		.amdhsa_next_free_vgpr 53
		.amdhsa_next_free_sgpr 8
		.amdhsa_accum_offset 56
		.amdhsa_reserve_vcc 1
		.amdhsa_float_round_mode_32 0
		.amdhsa_float_round_mode_16_64 0
		.amdhsa_float_denorm_mode_32 3
		.amdhsa_float_denorm_mode_16_64 3
		.amdhsa_dx10_clamp 1
		.amdhsa_ieee_mode 1
		.amdhsa_fp16_overflow 0
		.amdhsa_tg_split 0
		.amdhsa_exception_fp_ieee_invalid_op 0
		.amdhsa_exception_fp_denorm_src 0
		.amdhsa_exception_fp_ieee_div_zero 0
		.amdhsa_exception_fp_ieee_overflow 0
		.amdhsa_exception_fp_ieee_underflow 0
		.amdhsa_exception_fp_ieee_inexact 0
		.amdhsa_exception_int_div_zero 0
	.end_amdhsa_kernel
	.section	.text._Z16warp_load_kernelILj256ELj32ELj64ELN6hipcub17WarpLoadAlgorithmE1EiEvPT3_S3_,"axG",@progbits,_Z16warp_load_kernelILj256ELj32ELj64ELN6hipcub17WarpLoadAlgorithmE1EiEvPT3_S3_,comdat
.Lfunc_end50:
	.size	_Z16warp_load_kernelILj256ELj32ELj64ELN6hipcub17WarpLoadAlgorithmE1EiEvPT3_S3_, .Lfunc_end50-_Z16warp_load_kernelILj256ELj32ELj64ELN6hipcub17WarpLoadAlgorithmE1EiEvPT3_S3_
                                        ; -- End function
	.section	.AMDGPU.csdata,"",@progbits
; Kernel info:
; codeLenInByte = 1328
; NumSgprs: 14
; NumVgprs: 53
; NumAgprs: 0
; TotalNumVgprs: 53
; ScratchSize: 0
; MemoryBound: 0
; FloatMode: 240
; IeeeMode: 1
; LDSByteSize: 0 bytes/workgroup (compile time only)
; SGPRBlocks: 1
; VGPRBlocks: 6
; NumSGPRsForWavesPerEU: 14
; NumVGPRsForWavesPerEU: 53
; AccumOffset: 56
; Occupancy: 8
; WaveLimiterHint : 1
; COMPUTE_PGM_RSRC2:SCRATCH_EN: 0
; COMPUTE_PGM_RSRC2:USER_SGPR: 2
; COMPUTE_PGM_RSRC2:TRAP_HANDLER: 0
; COMPUTE_PGM_RSRC2:TGID_X_EN: 1
; COMPUTE_PGM_RSRC2:TGID_Y_EN: 0
; COMPUTE_PGM_RSRC2:TGID_Z_EN: 0
; COMPUTE_PGM_RSRC2:TIDIG_COMP_CNT: 0
; COMPUTE_PGM_RSRC3_GFX90A:ACCUM_OFFSET: 13
; COMPUTE_PGM_RSRC3_GFX90A:TG_SPLIT: 0
	.section	.text._Z16warp_load_kernelILj256ELj32ELj64ELN6hipcub17WarpLoadAlgorithmE2EiEvPT3_S3_,"axG",@progbits,_Z16warp_load_kernelILj256ELj32ELj64ELN6hipcub17WarpLoadAlgorithmE2EiEvPT3_S3_,comdat
	.protected	_Z16warp_load_kernelILj256ELj32ELj64ELN6hipcub17WarpLoadAlgorithmE2EiEvPT3_S3_ ; -- Begin function _Z16warp_load_kernelILj256ELj32ELj64ELN6hipcub17WarpLoadAlgorithmE2EiEvPT3_S3_
	.globl	_Z16warp_load_kernelILj256ELj32ELj64ELN6hipcub17WarpLoadAlgorithmE2EiEvPT3_S3_
	.p2align	8
	.type	_Z16warp_load_kernelILj256ELj32ELj64ELN6hipcub17WarpLoadAlgorithmE2EiEvPT3_S3_,@function
_Z16warp_load_kernelILj256ELj32ELj64ELN6hipcub17WarpLoadAlgorithmE2EiEvPT3_S3_: ; @_Z16warp_load_kernelILj256ELj32ELj64ELN6hipcub17WarpLoadAlgorithmE2EiEvPT3_S3_
; %bb.0:
	s_load_dwordx4 s[4:7], s[0:1], 0x0
	v_lshlrev_b32_e32 v4, 5, v0
	v_mbcnt_lo_u32_b32 v1, -1, 0
	s_lshl_b32 s0, s2, 13
	v_and_b32_e32 v4, 0x1800, v4
	s_waitcnt lgkmcnt(0)
	v_mov_b32_e32 v2, s4
	v_mov_b32_e32 v3, s5
	v_mbcnt_hi_u32_b32 v1, -1, v1
	v_or_b32_e32 v34, s0, v4
	v_mov_b32_e32 v35, 0
	v_lshl_add_u64 v[2:3], v[34:35], 2, v[2:3]
	v_lshlrev_b32_e32 v34, 7, v1
	v_lshl_add_u64 v[36:37], v[2:3], 0, v[34:35]
	global_load_dwordx4 v[2:5], v[36:37], off
	global_load_dwordx4 v[6:9], v[36:37], off offset:16
	global_load_dwordx4 v[10:13], v[36:37], off offset:32
	;; [unrolled: 1-line block ×7, first 2 shown]
	v_or_b32_e32 v34, s0, v0
	v_mov_b32_e32 v1, v35
	v_lshl_add_u64 v[58:59], v[34:35], 2, s[6:7]
	v_or_b32_e32 v0, 0x400, v34
	v_mov_b32_e32 v39, v35
	v_mov_b32_e32 v41, v35
	;; [unrolled: 1-line block ×11, first 2 shown]
	v_or_b32_e32 v38, 0x500, v34
	v_or_b32_e32 v40, 0x600, v34
	;; [unrolled: 1-line block ×11, first 2 shown]
	v_lshl_add_u64 v[0:1], v[0:1], 2, s[6:7]
	v_lshl_add_u64 v[38:39], v[38:39], 2, s[6:7]
	;; [unrolled: 1-line block ×12, first 2 shown]
	s_waitcnt vmcnt(7)
	global_store_dword v[58:59], v2, off
	global_store_dword v[58:59], v3, off offset:1024
	global_store_dword v[58:59], v4, off offset:2048
	;; [unrolled: 1-line block ×3, first 2 shown]
	v_mov_b32_e32 v3, v35
	v_mov_b32_e32 v5, v35
	;; [unrolled: 1-line block ×3, first 2 shown]
	v_or_b32_e32 v2, 0x1000, v34
	v_or_b32_e32 v4, 0x1100, v34
	;; [unrolled: 1-line block ×3, first 2 shown]
	v_lshl_add_u64 v[2:3], v[2:3], 2, s[6:7]
	v_lshl_add_u64 v[4:5], v[4:5], 2, s[6:7]
	v_lshl_add_u64 v[58:59], v[58:59], 2, s[6:7]
	s_waitcnt vmcnt(10)
	global_store_dword v[0:1], v6, off
	global_store_dword v[38:39], v7, off
	global_store_dword v[40:41], v8, off
	global_store_dword v[42:43], v9, off
	s_waitcnt vmcnt(13)
	global_store_dword v[44:45], v10, off
	global_store_dword v[46:47], v11, off
	global_store_dword v[48:49], v12, off
	global_store_dword v[50:51], v13, off
	;; [unrolled: 5-line block ×3, first 2 shown]
	s_waitcnt vmcnt(19)
	global_store_dword v[2:3], v18, off
	global_store_dword v[4:5], v19, off
	global_store_dword v[58:59], v20, off
	v_or_b32_e32 v0, 0x1300, v34
	v_mov_b32_e32 v1, v35
	v_lshl_add_u64 v[0:1], v[0:1], 2, s[6:7]
	global_store_dword v[0:1], v21, off
	v_or_b32_e32 v0, 0x1400, v34
	v_mov_b32_e32 v1, v35
	v_lshl_add_u64 v[0:1], v[0:1], 2, s[6:7]
	s_waitcnt vmcnt(22)
	global_store_dword v[0:1], v22, off
	v_or_b32_e32 v0, 0x1500, v34
	v_mov_b32_e32 v1, v35
	v_lshl_add_u64 v[0:1], v[0:1], 2, s[6:7]
	global_store_dword v[0:1], v23, off
	v_or_b32_e32 v0, 0x1600, v34
	v_mov_b32_e32 v1, v35
	v_lshl_add_u64 v[0:1], v[0:1], 2, s[6:7]
	;; [unrolled: 4-line block ×4, first 2 shown]
	s_waitcnt vmcnt(24)
	global_store_dword v[0:1], v30, off
	v_or_b32_e32 v0, 0x1900, v34
	v_mov_b32_e32 v1, v35
	v_lshl_add_u64 v[0:1], v[0:1], 2, s[6:7]
	global_store_dword v[0:1], v31, off
	v_or_b32_e32 v0, 0x1a00, v34
	v_mov_b32_e32 v1, v35
	v_lshl_add_u64 v[0:1], v[0:1], 2, s[6:7]
	;; [unrolled: 4-line block ×6, first 2 shown]
	v_or_b32_e32 v34, 0x1f00, v34
	global_store_dword v[0:1], v28, off
	v_lshl_add_u64 v[0:1], v[34:35], 2, s[6:7]
	global_store_dword v[0:1], v29, off
	s_endpgm
	.section	.rodata,"a",@progbits
	.p2align	6, 0x0
	.amdhsa_kernel _Z16warp_load_kernelILj256ELj32ELj64ELN6hipcub17WarpLoadAlgorithmE2EiEvPT3_S3_
		.amdhsa_group_segment_fixed_size 0
		.amdhsa_private_segment_fixed_size 0
		.amdhsa_kernarg_size 16
		.amdhsa_user_sgpr_count 2
		.amdhsa_user_sgpr_dispatch_ptr 0
		.amdhsa_user_sgpr_queue_ptr 0
		.amdhsa_user_sgpr_kernarg_segment_ptr 1
		.amdhsa_user_sgpr_dispatch_id 0
		.amdhsa_user_sgpr_kernarg_preload_length 0
		.amdhsa_user_sgpr_kernarg_preload_offset 0
		.amdhsa_user_sgpr_private_segment_size 0
		.amdhsa_uses_dynamic_stack 0
		.amdhsa_enable_private_segment 0
		.amdhsa_system_sgpr_workgroup_id_x 1
		.amdhsa_system_sgpr_workgroup_id_y 0
		.amdhsa_system_sgpr_workgroup_id_z 0
		.amdhsa_system_sgpr_workgroup_info 0
		.amdhsa_system_vgpr_workitem_id 0
		.amdhsa_next_free_vgpr 60
		.amdhsa_next_free_sgpr 8
		.amdhsa_accum_offset 60
		.amdhsa_reserve_vcc 0
		.amdhsa_float_round_mode_32 0
		.amdhsa_float_round_mode_16_64 0
		.amdhsa_float_denorm_mode_32 3
		.amdhsa_float_denorm_mode_16_64 3
		.amdhsa_dx10_clamp 1
		.amdhsa_ieee_mode 1
		.amdhsa_fp16_overflow 0
		.amdhsa_tg_split 0
		.amdhsa_exception_fp_ieee_invalid_op 0
		.amdhsa_exception_fp_denorm_src 0
		.amdhsa_exception_fp_ieee_div_zero 0
		.amdhsa_exception_fp_ieee_overflow 0
		.amdhsa_exception_fp_ieee_underflow 0
		.amdhsa_exception_fp_ieee_inexact 0
		.amdhsa_exception_int_div_zero 0
	.end_amdhsa_kernel
	.section	.text._Z16warp_load_kernelILj256ELj32ELj64ELN6hipcub17WarpLoadAlgorithmE2EiEvPT3_S3_,"axG",@progbits,_Z16warp_load_kernelILj256ELj32ELj64ELN6hipcub17WarpLoadAlgorithmE2EiEvPT3_S3_,comdat
.Lfunc_end51:
	.size	_Z16warp_load_kernelILj256ELj32ELj64ELN6hipcub17WarpLoadAlgorithmE2EiEvPT3_S3_, .Lfunc_end51-_Z16warp_load_kernelILj256ELj32ELj64ELN6hipcub17WarpLoadAlgorithmE2EiEvPT3_S3_
                                        ; -- End function
	.section	.AMDGPU.csdata,"",@progbits
; Kernel info:
; codeLenInByte = 1000
; NumSgprs: 14
; NumVgprs: 60
; NumAgprs: 0
; TotalNumVgprs: 60
; ScratchSize: 0
; MemoryBound: 0
; FloatMode: 240
; IeeeMode: 1
; LDSByteSize: 0 bytes/workgroup (compile time only)
; SGPRBlocks: 1
; VGPRBlocks: 7
; NumSGPRsForWavesPerEU: 14
; NumVGPRsForWavesPerEU: 60
; AccumOffset: 60
; Occupancy: 8
; WaveLimiterHint : 1
; COMPUTE_PGM_RSRC2:SCRATCH_EN: 0
; COMPUTE_PGM_RSRC2:USER_SGPR: 2
; COMPUTE_PGM_RSRC2:TRAP_HANDLER: 0
; COMPUTE_PGM_RSRC2:TGID_X_EN: 1
; COMPUTE_PGM_RSRC2:TGID_Y_EN: 0
; COMPUTE_PGM_RSRC2:TGID_Z_EN: 0
; COMPUTE_PGM_RSRC2:TIDIG_COMP_CNT: 0
; COMPUTE_PGM_RSRC3_GFX90A:ACCUM_OFFSET: 14
; COMPUTE_PGM_RSRC3_GFX90A:TG_SPLIT: 0
	.section	.text._Z16warp_load_kernelILj256ELj32ELj64ELN6hipcub17WarpLoadAlgorithmE3EiEvPT3_S3_,"axG",@progbits,_Z16warp_load_kernelILj256ELj32ELj64ELN6hipcub17WarpLoadAlgorithmE3EiEvPT3_S3_,comdat
	.protected	_Z16warp_load_kernelILj256ELj32ELj64ELN6hipcub17WarpLoadAlgorithmE3EiEvPT3_S3_ ; -- Begin function _Z16warp_load_kernelILj256ELj32ELj64ELN6hipcub17WarpLoadAlgorithmE3EiEvPT3_S3_
	.globl	_Z16warp_load_kernelILj256ELj32ELj64ELN6hipcub17WarpLoadAlgorithmE3EiEvPT3_S3_
	.p2align	8
	.type	_Z16warp_load_kernelILj256ELj32ELj64ELN6hipcub17WarpLoadAlgorithmE3EiEvPT3_S3_,@function
_Z16warp_load_kernelILj256ELj32ELj64ELN6hipcub17WarpLoadAlgorithmE3EiEvPT3_S3_: ; @_Z16warp_load_kernelILj256ELj32ELj64ELN6hipcub17WarpLoadAlgorithmE3EiEvPT3_S3_
; %bb.0:
	s_load_dwordx4 s[4:7], s[0:1], 0x0
	v_lshrrev_b32_e32 v8, 6, v0
	v_mbcnt_lo_u32_b32 v1, -1, 0
	s_lshl_b32 s0, s2, 13
	v_mbcnt_hi_u32_b32 v1, -1, v1
	s_waitcnt lgkmcnt(0)
	v_mov_b32_e32 v4, s4
	v_mov_b32_e32 v5, s5
	v_lshl_or_b32 v2, v8, 11, s0
	v_mov_b32_e32 v3, 0
	v_lshl_add_u64 v[4:5], v[2:3], 2, v[4:5]
	v_lshlrev_b32_e32 v2, 2, v1
	v_lshlrev_b32_e32 v9, 7, v1
	v_lshl_add_u64 v[4:5], v[4:5], 0, v[2:3]
	v_and_b32_e32 v6, 0x2000, v9
	v_mov_b32_e32 v7, v3
	v_lshl_add_u64 v[4:5], v[4:5], 0, v[6:7]
	s_movk_i32 s1, 0x1000
	global_load_dword v6, v[4:5], off
	global_load_dword v7, v[4:5], off offset:256
	global_load_dword v10, v[4:5], off offset:512
	;; [unrolled: 1-line block ×15, first 2 shown]
	v_add_co_u32_e32 v4, vcc, s1, v4
	v_mov_b32_e32 v1, v3
	s_nop 0
	v_addc_co_u32_e32 v5, vcc, 0, v5, vcc
	global_load_dword v24, v[4:5], off
	global_load_dword v25, v[4:5], off offset:256
	global_load_dword v26, v[4:5], off offset:512
	;; [unrolled: 1-line block ×14, first 2 shown]
	s_nop 0
	global_load_dword v4, v[4:5], off offset:3840
	v_lshlrev_b32_e32 v5, 13, v8
	v_add_u32_e32 v43, v5, v9
	v_or_b32_e32 v5, v5, v2
	v_or_b32_e32 v2, s0, v0
	;; [unrolled: 1-line block ×3, first 2 shown]
	v_mov_b32_e32 v37, v3
	v_lshl_add_u64 v[38:39], v[2:3], 2, s[6:7]
	v_or_b32_e32 v36, 0x500, v2
	v_lshl_add_u64 v[0:1], v[0:1], 2, s[6:7]
	s_waitcnt vmcnt(30)
	ds_write2st64_b32 v5, v6, v7 offset1:1
	s_waitcnt vmcnt(28)
	ds_write2st64_b32 v5, v10, v11 offset0:2 offset1:3
	s_waitcnt vmcnt(26)
	ds_write2st64_b32 v5, v12, v13 offset0:4 offset1:5
	;; [unrolled: 2-line block ×15, first 2 shown]
	; wave barrier
	ds_read_b128 v[4:7], v43
	ds_read_b128 v[8:11], v43 offset:16
	ds_read_b128 v[12:15], v43 offset:32
	;; [unrolled: 1-line block ×7, first 2 shown]
	s_waitcnt lgkmcnt(7)
	global_store_dword v[38:39], v4, off
	global_store_dword v[38:39], v5, off offset:1024
	global_store_dword v[38:39], v6, off offset:2048
	global_store_dword v[38:39], v7, off offset:3072
	s_waitcnt lgkmcnt(6)
	global_store_dword v[0:1], v8, off
	v_lshl_add_u64 v[0:1], v[36:37], 2, s[6:7]
	global_store_dword v[0:1], v9, off
	v_or_b32_e32 v0, 0x600, v2
	v_mov_b32_e32 v1, v3
	v_lshl_add_u64 v[0:1], v[0:1], 2, s[6:7]
	global_store_dword v[0:1], v10, off
	v_or_b32_e32 v0, 0x700, v2
	v_mov_b32_e32 v1, v3
	v_lshl_add_u64 v[0:1], v[0:1], 2, s[6:7]
	global_store_dword v[0:1], v11, off
	v_or_b32_e32 v0, 0x800, v2
	v_mov_b32_e32 v1, v3
	v_lshl_add_u64 v[0:1], v[0:1], 2, s[6:7]
	s_waitcnt lgkmcnt(5)
	global_store_dword v[0:1], v12, off
	v_or_b32_e32 v0, 0x900, v2
	v_mov_b32_e32 v1, v3
	v_lshl_add_u64 v[0:1], v[0:1], 2, s[6:7]
	global_store_dword v[0:1], v13, off
	v_or_b32_e32 v0, 0xa00, v2
	v_mov_b32_e32 v1, v3
	v_lshl_add_u64 v[0:1], v[0:1], 2, s[6:7]
	global_store_dword v[0:1], v14, off
	v_or_b32_e32 v0, 0xb00, v2
	v_mov_b32_e32 v1, v3
	v_lshl_add_u64 v[0:1], v[0:1], 2, s[6:7]
	global_store_dword v[0:1], v15, off
	v_or_b32_e32 v0, 0xc00, v2
	v_mov_b32_e32 v1, v3
	v_lshl_add_u64 v[0:1], v[0:1], 2, s[6:7]
	s_waitcnt lgkmcnt(4)
	global_store_dword v[0:1], v16, off
	v_or_b32_e32 v0, 0xd00, v2
	v_mov_b32_e32 v1, v3
	;; [unrolled: 17-line block ×6, first 2 shown]
	v_lshl_add_u64 v[0:1], v[0:1], 2, s[6:7]
	global_store_dword v[0:1], v33, off
	v_or_b32_e32 v0, 0x1e00, v2
	v_mov_b32_e32 v1, v3
	v_lshl_add_u64 v[0:1], v[0:1], 2, s[6:7]
	v_or_b32_e32 v2, 0x1f00, v2
	global_store_dword v[0:1], v34, off
	v_lshl_add_u64 v[0:1], v[2:3], 2, s[6:7]
	global_store_dword v[0:1], v35, off
	s_endpgm
	.section	.rodata,"a",@progbits
	.p2align	6, 0x0
	.amdhsa_kernel _Z16warp_load_kernelILj256ELj32ELj64ELN6hipcub17WarpLoadAlgorithmE3EiEvPT3_S3_
		.amdhsa_group_segment_fixed_size 32768
		.amdhsa_private_segment_fixed_size 0
		.amdhsa_kernarg_size 16
		.amdhsa_user_sgpr_count 2
		.amdhsa_user_sgpr_dispatch_ptr 0
		.amdhsa_user_sgpr_queue_ptr 0
		.amdhsa_user_sgpr_kernarg_segment_ptr 1
		.amdhsa_user_sgpr_dispatch_id 0
		.amdhsa_user_sgpr_kernarg_preload_length 0
		.amdhsa_user_sgpr_kernarg_preload_offset 0
		.amdhsa_user_sgpr_private_segment_size 0
		.amdhsa_uses_dynamic_stack 0
		.amdhsa_enable_private_segment 0
		.amdhsa_system_sgpr_workgroup_id_x 1
		.amdhsa_system_sgpr_workgroup_id_y 0
		.amdhsa_system_sgpr_workgroup_id_z 0
		.amdhsa_system_sgpr_workgroup_info 0
		.amdhsa_system_vgpr_workitem_id 0
		.amdhsa_next_free_vgpr 44
		.amdhsa_next_free_sgpr 8
		.amdhsa_accum_offset 44
		.amdhsa_reserve_vcc 1
		.amdhsa_float_round_mode_32 0
		.amdhsa_float_round_mode_16_64 0
		.amdhsa_float_denorm_mode_32 3
		.amdhsa_float_denorm_mode_16_64 3
		.amdhsa_dx10_clamp 1
		.amdhsa_ieee_mode 1
		.amdhsa_fp16_overflow 0
		.amdhsa_tg_split 0
		.amdhsa_exception_fp_ieee_invalid_op 0
		.amdhsa_exception_fp_denorm_src 0
		.amdhsa_exception_fp_ieee_div_zero 0
		.amdhsa_exception_fp_ieee_overflow 0
		.amdhsa_exception_fp_ieee_underflow 0
		.amdhsa_exception_fp_ieee_inexact 0
		.amdhsa_exception_int_div_zero 0
	.end_amdhsa_kernel
	.section	.text._Z16warp_load_kernelILj256ELj32ELj64ELN6hipcub17WarpLoadAlgorithmE3EiEvPT3_S3_,"axG",@progbits,_Z16warp_load_kernelILj256ELj32ELj64ELN6hipcub17WarpLoadAlgorithmE3EiEvPT3_S3_,comdat
.Lfunc_end52:
	.size	_Z16warp_load_kernelILj256ELj32ELj64ELN6hipcub17WarpLoadAlgorithmE3EiEvPT3_S3_, .Lfunc_end52-_Z16warp_load_kernelILj256ELj32ELj64ELN6hipcub17WarpLoadAlgorithmE3EiEvPT3_S3_
                                        ; -- End function
	.section	.AMDGPU.csdata,"",@progbits
; Kernel info:
; codeLenInByte = 1504
; NumSgprs: 14
; NumVgprs: 44
; NumAgprs: 0
; TotalNumVgprs: 44
; ScratchSize: 0
; MemoryBound: 0
; FloatMode: 240
; IeeeMode: 1
; LDSByteSize: 32768 bytes/workgroup (compile time only)
; SGPRBlocks: 1
; VGPRBlocks: 5
; NumSGPRsForWavesPerEU: 14
; NumVGPRsForWavesPerEU: 44
; AccumOffset: 44
; Occupancy: 2
; WaveLimiterHint : 1
; COMPUTE_PGM_RSRC2:SCRATCH_EN: 0
; COMPUTE_PGM_RSRC2:USER_SGPR: 2
; COMPUTE_PGM_RSRC2:TRAP_HANDLER: 0
; COMPUTE_PGM_RSRC2:TGID_X_EN: 1
; COMPUTE_PGM_RSRC2:TGID_Y_EN: 0
; COMPUTE_PGM_RSRC2:TGID_Z_EN: 0
; COMPUTE_PGM_RSRC2:TIDIG_COMP_CNT: 0
; COMPUTE_PGM_RSRC3_GFX90A:ACCUM_OFFSET: 10
; COMPUTE_PGM_RSRC3_GFX90A:TG_SPLIT: 0
	.section	.text._Z16warp_load_kernelILj256ELj64ELj64ELN6hipcub17WarpLoadAlgorithmE0EiEvPT3_S3_,"axG",@progbits,_Z16warp_load_kernelILj256ELj64ELj64ELN6hipcub17WarpLoadAlgorithmE0EiEvPT3_S3_,comdat
	.protected	_Z16warp_load_kernelILj256ELj64ELj64ELN6hipcub17WarpLoadAlgorithmE0EiEvPT3_S3_ ; -- Begin function _Z16warp_load_kernelILj256ELj64ELj64ELN6hipcub17WarpLoadAlgorithmE0EiEvPT3_S3_
	.globl	_Z16warp_load_kernelILj256ELj64ELj64ELN6hipcub17WarpLoadAlgorithmE0EiEvPT3_S3_
	.p2align	8
	.type	_Z16warp_load_kernelILj256ELj64ELj64ELN6hipcub17WarpLoadAlgorithmE0EiEvPT3_S3_,@function
_Z16warp_load_kernelILj256ELj64ELj64ELN6hipcub17WarpLoadAlgorithmE0EiEvPT3_S3_: ; @_Z16warp_load_kernelILj256ELj64ELj64ELN6hipcub17WarpLoadAlgorithmE0EiEvPT3_S3_
; %bb.0:
	s_load_dwordx4 s[4:7], s[0:1], 0x0
	v_lshlrev_b32_e32 v4, 6, v0
	v_mbcnt_lo_u32_b32 v1, -1, 0
	s_lshl_b32 s0, s2, 14
	v_and_b32_e32 v4, 0x3000, v4
	s_waitcnt lgkmcnt(0)
	v_mov_b32_e32 v2, s4
	v_mov_b32_e32 v3, s5
	v_mbcnt_hi_u32_b32 v1, -1, v1
	v_or_b32_e32 v28, s0, v4
	v_mov_b32_e32 v29, 0
	v_lshl_add_u64 v[2:3], v[28:29], 2, v[2:3]
	v_lshlrev_b32_e32 v28, 8, v1
	v_lshl_add_u64 v[66:67], v[2:3], 0, v[28:29]
	global_load_dwordx4 v[30:33], v[66:67], off
	global_load_dwordx4 v[34:37], v[66:67], off offset:16
	global_load_dwordx4 v[38:41], v[66:67], off offset:32
	;; [unrolled: 1-line block ×4, first 2 shown]
	v_or_b32_e32 v28, s0, v0
	global_load_dwordx4 v[50:53], v[66:67], off offset:80
	global_load_dwordx4 v[54:57], v[66:67], off offset:112
	;; [unrolled: 1-line block ×11, first 2 shown]
	v_lshl_add_u64 v[66:67], v[28:29], 2, s[6:7]
	s_waitcnt vmcnt(15)
	global_store_dword v[66:67], v30, off
	global_store_dword v[66:67], v31, off offset:1024
	global_store_dword v[66:67], v32, off offset:2048
	;; [unrolled: 1-line block ×3, first 2 shown]
	v_mov_b32_e32 v31, v29
	v_or_b32_e32 v30, 0x400, v28
	v_lshl_add_u64 v[30:31], v[30:31], 2, s[6:7]
	v_mov_b32_e32 v33, v29
	s_waitcnt vmcnt(18)
	global_store_dword v[30:31], v34, off
	v_mov_b32_e32 v31, v29
	v_or_b32_e32 v32, 0x500, v28
	v_or_b32_e32 v30, 0x700, v28
	v_mov_b32_e32 v67, v29
	v_lshl_add_u64 v[32:33], v[32:33], 2, s[6:7]
	v_or_b32_e32 v66, 0x600, v28
	v_lshl_add_u64 v[30:31], v[30:31], 2, s[6:7]
	global_store_dword v[32:33], v35, off
	v_lshl_add_u64 v[34:35], v[66:67], 2, s[6:7]
	global_store_dword v[30:31], v37, off
	v_mov_b32_e32 v31, v29
	v_or_b32_e32 v30, 0xa00, v28
	v_mov_b32_e32 v33, v29
	global_store_dword v[34:35], v36, off
	v_mov_b32_e32 v35, v29
	v_mov_b32_e32 v37, v29
	v_or_b32_e32 v32, 0x800, v28
	v_or_b32_e32 v34, 0x900, v28
	v_lshl_add_u64 v[30:31], v[30:31], 2, s[6:7]
	v_or_b32_e32 v36, 0xb00, v28
	v_lshl_add_u64 v[32:33], v[32:33], 2, s[6:7]
	v_lshl_add_u64 v[34:35], v[34:35], 2, s[6:7]
	s_waitcnt vmcnt(21)
	global_store_dword v[30:31], v40, off
	v_mov_b32_e32 v31, v29
	v_lshl_add_u64 v[36:37], v[36:37], 2, s[6:7]
	v_or_b32_e32 v66, 0xc00, v28
	v_or_b32_e32 v30, 0xf00, v28
	global_store_dword v[32:33], v38, off
	v_mov_b32_e32 v33, v29
	global_store_dword v[34:35], v39, off
	v_mov_b32_e32 v35, v29
	;; [unrolled: 2-line block ×3, first 2 shown]
	v_or_b32_e32 v32, 0xd00, v28
	v_or_b32_e32 v34, 0xe00, v28
	;; [unrolled: 1-line block ×3, first 2 shown]
	v_lshl_add_u64 v[38:39], v[66:67], 2, s[6:7]
	v_lshl_add_u64 v[30:31], v[30:31], 2, s[6:7]
	;; [unrolled: 1-line block ×5, first 2 shown]
	s_waitcnt vmcnt(24)
	global_store_dword v[38:39], v42, off
	global_store_dword v[32:33], v43, off
	;; [unrolled: 1-line block ×4, first 2 shown]
	s_waitcnt vmcnt(27)
	global_store_dword v[36:37], v46, off
	v_or_b32_e32 v30, 0x1100, v28
	v_mov_b32_e32 v31, v29
	v_lshl_add_u64 v[30:31], v[30:31], 2, s[6:7]
	global_store_dword v[30:31], v47, off
	v_or_b32_e32 v30, 0x1200, v28
	v_mov_b32_e32 v31, v29
	v_lshl_add_u64 v[30:31], v[30:31], 2, s[6:7]
	global_store_dword v[30:31], v48, off
	v_or_b32_e32 v30, 0x1300, v28
	v_mov_b32_e32 v31, v29
	v_lshl_add_u64 v[30:31], v[30:31], 2, s[6:7]
	global_store_dword v[30:31], v49, off
	v_or_b32_e32 v30, 0x1400, v28
	v_mov_b32_e32 v31, v29
	v_lshl_add_u64 v[30:31], v[30:31], 2, s[6:7]
	s_waitcnt vmcnt(30)
	global_store_dword v[30:31], v50, off
	v_or_b32_e32 v30, 0x1500, v28
	v_mov_b32_e32 v31, v29
	v_lshl_add_u64 v[30:31], v[30:31], 2, s[6:7]
	global_store_dword v[30:31], v51, off
	v_or_b32_e32 v30, 0x1600, v28
	v_mov_b32_e32 v31, v29
	v_lshl_add_u64 v[30:31], v[30:31], 2, s[6:7]
	global_store_dword v[30:31], v52, off
	v_or_b32_e32 v30, 0x1700, v28
	v_mov_b32_e32 v31, v29
	v_lshl_add_u64 v[30:31], v[30:31], 2, s[6:7]
	global_store_dword v[30:31], v53, off
	v_or_b32_e32 v30, 0x1800, v28
	v_mov_b32_e32 v31, v29
	v_lshl_add_u64 v[30:31], v[30:31], 2, s[6:7]
	;; [unrolled: 17-line block ×3, first 2 shown]
	global_store_dword v[30:31], v54, off
	v_or_b32_e32 v30, 0x1d00, v28
	v_mov_b32_e32 v31, v29
	v_lshl_add_u64 v[30:31], v[30:31], 2, s[6:7]
	global_store_dword v[30:31], v55, off
	v_or_b32_e32 v30, 0x1e00, v28
	v_mov_b32_e32 v31, v29
	v_lshl_add_u64 v[30:31], v[30:31], 2, s[6:7]
	;; [unrolled: 4-line block ×4, first 2 shown]
	s_waitcnt vmcnt(36)
	global_store_dword v[30:31], v62, off
	v_or_b32_e32 v30, 0x2100, v28
	v_mov_b32_e32 v31, v29
	v_lshl_add_u64 v[30:31], v[30:31], 2, s[6:7]
	global_store_dword v[30:31], v63, off
	v_or_b32_e32 v30, 0x2200, v28
	v_mov_b32_e32 v31, v29
	v_lshl_add_u64 v[30:31], v[30:31], 2, s[6:7]
	;; [unrolled: 4-line block ×16, first 2 shown]
	s_waitcnt vmcnt(48)
	global_store_dword v[16:17], v12, off
	v_or_b32_e32 v16, 0x3100, v28
	v_mov_b32_e32 v17, v29
	v_lshl_add_u64 v[16:17], v[16:17], 2, s[6:7]
	global_store_dword v[16:17], v13, off
	v_or_b32_e32 v12, 0x3200, v28
	v_mov_b32_e32 v13, v29
	v_lshl_add_u64 v[12:13], v[12:13], 2, s[6:7]
	;; [unrolled: 4-line block ×14, first 2 shown]
	v_or_b32_e32 v28, 0x3f00, v28
	global_store_dword v[0:1], v2, off
	v_lshl_add_u64 v[0:1], v[28:29], 2, s[6:7]
	global_store_dword v[0:1], v3, off
	s_endpgm
	.section	.rodata,"a",@progbits
	.p2align	6, 0x0
	.amdhsa_kernel _Z16warp_load_kernelILj256ELj64ELj64ELN6hipcub17WarpLoadAlgorithmE0EiEvPT3_S3_
		.amdhsa_group_segment_fixed_size 0
		.amdhsa_private_segment_fixed_size 0
		.amdhsa_kernarg_size 16
		.amdhsa_user_sgpr_count 2
		.amdhsa_user_sgpr_dispatch_ptr 0
		.amdhsa_user_sgpr_queue_ptr 0
		.amdhsa_user_sgpr_kernarg_segment_ptr 1
		.amdhsa_user_sgpr_dispatch_id 0
		.amdhsa_user_sgpr_kernarg_preload_length 0
		.amdhsa_user_sgpr_kernarg_preload_offset 0
		.amdhsa_user_sgpr_private_segment_size 0
		.amdhsa_uses_dynamic_stack 0
		.amdhsa_enable_private_segment 0
		.amdhsa_system_sgpr_workgroup_id_x 1
		.amdhsa_system_sgpr_workgroup_id_y 0
		.amdhsa_system_sgpr_workgroup_id_z 0
		.amdhsa_system_sgpr_workgroup_info 0
		.amdhsa_system_vgpr_workitem_id 0
		.amdhsa_next_free_vgpr 68
		.amdhsa_next_free_sgpr 8
		.amdhsa_accum_offset 68
		.amdhsa_reserve_vcc 0
		.amdhsa_float_round_mode_32 0
		.amdhsa_float_round_mode_16_64 0
		.amdhsa_float_denorm_mode_32 3
		.amdhsa_float_denorm_mode_16_64 3
		.amdhsa_dx10_clamp 1
		.amdhsa_ieee_mode 1
		.amdhsa_fp16_overflow 0
		.amdhsa_tg_split 0
		.amdhsa_exception_fp_ieee_invalid_op 0
		.amdhsa_exception_fp_denorm_src 0
		.amdhsa_exception_fp_ieee_div_zero 0
		.amdhsa_exception_fp_ieee_overflow 0
		.amdhsa_exception_fp_ieee_underflow 0
		.amdhsa_exception_fp_ieee_inexact 0
		.amdhsa_exception_int_div_zero 0
	.end_amdhsa_kernel
	.section	.text._Z16warp_load_kernelILj256ELj64ELj64ELN6hipcub17WarpLoadAlgorithmE0EiEvPT3_S3_,"axG",@progbits,_Z16warp_load_kernelILj256ELj64ELj64ELN6hipcub17WarpLoadAlgorithmE0EiEvPT3_S3_,comdat
.Lfunc_end53:
	.size	_Z16warp_load_kernelILj256ELj64ELj64ELN6hipcub17WarpLoadAlgorithmE0EiEvPT3_S3_, .Lfunc_end53-_Z16warp_load_kernelILj256ELj64ELj64ELN6hipcub17WarpLoadAlgorithmE0EiEvPT3_S3_
                                        ; -- End function
	.section	.AMDGPU.csdata,"",@progbits
; Kernel info:
; codeLenInByte = 1964
; NumSgprs: 14
; NumVgprs: 68
; NumAgprs: 0
; TotalNumVgprs: 68
; ScratchSize: 0
; MemoryBound: 0
; FloatMode: 240
; IeeeMode: 1
; LDSByteSize: 0 bytes/workgroup (compile time only)
; SGPRBlocks: 1
; VGPRBlocks: 8
; NumSGPRsForWavesPerEU: 14
; NumVGPRsForWavesPerEU: 68
; AccumOffset: 68
; Occupancy: 7
; WaveLimiterHint : 1
; COMPUTE_PGM_RSRC2:SCRATCH_EN: 0
; COMPUTE_PGM_RSRC2:USER_SGPR: 2
; COMPUTE_PGM_RSRC2:TRAP_HANDLER: 0
; COMPUTE_PGM_RSRC2:TGID_X_EN: 1
; COMPUTE_PGM_RSRC2:TGID_Y_EN: 0
; COMPUTE_PGM_RSRC2:TGID_Z_EN: 0
; COMPUTE_PGM_RSRC2:TIDIG_COMP_CNT: 0
; COMPUTE_PGM_RSRC3_GFX90A:ACCUM_OFFSET: 16
; COMPUTE_PGM_RSRC3_GFX90A:TG_SPLIT: 0
	.section	.text._Z16warp_load_kernelILj256ELj64ELj64ELN6hipcub17WarpLoadAlgorithmE1EiEvPT3_S3_,"axG",@progbits,_Z16warp_load_kernelILj256ELj64ELj64ELN6hipcub17WarpLoadAlgorithmE1EiEvPT3_S3_,comdat
	.protected	_Z16warp_load_kernelILj256ELj64ELj64ELN6hipcub17WarpLoadAlgorithmE1EiEvPT3_S3_ ; -- Begin function _Z16warp_load_kernelILj256ELj64ELj64ELN6hipcub17WarpLoadAlgorithmE1EiEvPT3_S3_
	.globl	_Z16warp_load_kernelILj256ELj64ELj64ELN6hipcub17WarpLoadAlgorithmE1EiEvPT3_S3_
	.p2align	8
	.type	_Z16warp_load_kernelILj256ELj64ELj64ELN6hipcub17WarpLoadAlgorithmE1EiEvPT3_S3_,@function
_Z16warp_load_kernelILj256ELj64ELj64ELN6hipcub17WarpLoadAlgorithmE1EiEvPT3_S3_: ; @_Z16warp_load_kernelILj256ELj64ELj64ELN6hipcub17WarpLoadAlgorithmE1EiEvPT3_S3_
; %bb.0:
	s_load_dwordx4 s[4:7], s[0:1], 0x0
	v_lshlrev_b32_e32 v2, 6, v0
	v_mbcnt_lo_u32_b32 v1, -1, 0
	s_lshl_b32 s0, s2, 14
	v_and_b32_e32 v2, 0x3000, v2
	s_waitcnt lgkmcnt(0)
	v_mov_b32_e32 v4, s4
	v_mov_b32_e32 v5, s5
	v_mbcnt_hi_u32_b32 v1, -1, v1
	v_or_b32_e32 v2, s0, v2
	v_mov_b32_e32 v3, 0
	v_lshl_add_u64 v[4:5], v[2:3], 2, v[4:5]
	v_lshlrev_b32_e32 v2, 2, v1
	v_lshlrev_b32_e32 v1, 8, v1
	v_lshl_add_u64 v[4:5], v[4:5], 0, v[2:3]
	v_and_b32_e32 v2, 0x4000, v1
	v_lshl_add_u64 v[4:5], v[4:5], 0, v[2:3]
	global_load_dword v10, v[4:5], off
	global_load_dword v11, v[4:5], off offset:256
	global_load_dword v12, v[4:5], off offset:512
	;; [unrolled: 1-line block ×15, first 2 shown]
	s_movk_i32 s2, 0x1000
	v_add_co_u32_e32 v6, vcc, s2, v4
	s_movk_i32 s2, 0x2000
	s_nop 0
	v_addc_co_u32_e32 v7, vcc, 0, v5, vcc
	v_add_co_u32_e32 v8, vcc, s2, v4
	s_movk_i32 s1, 0x3000
	s_nop 0
	v_addc_co_u32_e32 v9, vcc, 0, v5, vcc
	global_load_dword v26, v[8:9], off offset:-4096
	global_load_dword v27, v[6:7], off offset:256
	global_load_dword v28, v[6:7], off offset:512
	;; [unrolled: 1-line block ×8, first 2 shown]
	global_load_dword v35, v[8:9], off
	global_load_dword v36, v[8:9], off offset:256
	global_load_dword v37, v[8:9], off offset:512
	;; [unrolled: 1-line block ×15, first 2 shown]
	v_add_co_u32_e32 v4, vcc, s1, v4
	v_or_b32_e32 v2, s0, v0
	s_nop 0
	v_addc_co_u32_e32 v5, vcc, 0, v5, vcc
	global_load_dword v8, v[6:7], off offset:2304
	global_load_dword v9, v[6:7], off offset:2560
	;; [unrolled: 1-line block ×7, first 2 shown]
	global_load_dword v56, v[4:5], off
	global_load_dword v57, v[4:5], off offset:256
	global_load_dword v58, v[4:5], off offset:512
	;; [unrolled: 1-line block ×7, first 2 shown]
                                        ; kill: killed $vgpr6 killed $vgpr7
	global_load_dword v6, v[4:5], off offset:2048
	global_load_dword v7, v[4:5], off offset:2304
	;; [unrolled: 1-line block ×8, first 2 shown]
	v_lshl_add_u64 v[0:1], v[2:3], 2, s[6:7]
	s_waitcnt vmcnt(62)
	global_store_dword v[0:1], v10, off
	global_store_dword v[0:1], v11, off offset:1024
	s_waitcnt vmcnt(62)
	global_store_dword v[0:1], v12, off offset:2048
	global_store_dword v[0:1], v13, off offset:3072
	v_or_b32_e32 v0, 0x400, v2
	v_mov_b32_e32 v1, v3
	v_lshl_add_u64 v[0:1], v[0:1], 2, s[6:7]
	s_waitcnt vmcnt(62)
	global_store_dword v[0:1], v14, off
	v_or_b32_e32 v0, 0x500, v2
	v_mov_b32_e32 v1, v3
	v_lshl_add_u64 v[0:1], v[0:1], 2, s[6:7]
	global_store_dword v[0:1], v15, off
	v_or_b32_e32 v0, 0x600, v2
	v_mov_b32_e32 v1, v3
	v_lshl_add_u64 v[0:1], v[0:1], 2, s[6:7]
	s_waitcnt vmcnt(62)
	global_store_dword v[0:1], v16, off
	v_or_b32_e32 v0, 0x700, v2
	v_mov_b32_e32 v1, v3
	v_lshl_add_u64 v[0:1], v[0:1], 2, s[6:7]
	global_store_dword v[0:1], v17, off
	;; [unrolled: 9-line block ×10, first 2 shown]
	v_or_b32_e32 v0, 0x1800, v2
	v_mov_b32_e32 v1, v3
	v_lshl_add_u64 v[0:1], v[0:1], 2, s[6:7]
	s_waitcnt vmcnt(62)
	global_store_dword v[0:1], v34, off
	v_or_b32_e32 v0, 0x1900, v2
	v_mov_b32_e32 v1, v3
	v_lshl_add_u64 v[0:1], v[0:1], 2, s[6:7]
	s_waitcnt vmcnt(47)
	global_store_dword v[0:1], v8, off
	;; [unrolled: 5-line block ×8, first 2 shown]
	v_or_b32_e32 v0, 0x2000, v2
	v_mov_b32_e32 v1, v3
	v_lshl_add_u64 v[0:1], v[0:1], 2, s[6:7]
	global_store_dword v[0:1], v35, off
	v_or_b32_e32 v0, 0x2100, v2
	v_mov_b32_e32 v1, v3
	v_lshl_add_u64 v[0:1], v[0:1], 2, s[6:7]
	global_store_dword v[0:1], v36, off
	;; [unrolled: 4-line block ×16, first 2 shown]
	v_or_b32_e32 v0, 0x3000, v2
	v_mov_b32_e32 v1, v3
	v_lshl_add_u64 v[0:1], v[0:1], 2, s[6:7]
	s_waitcnt vmcnt(62)
	global_store_dword v[0:1], v56, off
	v_or_b32_e32 v0, 0x3100, v2
	v_mov_b32_e32 v1, v3
	v_lshl_add_u64 v[0:1], v[0:1], 2, s[6:7]
	global_store_dword v[0:1], v57, off
	v_or_b32_e32 v0, 0x3200, v2
	v_mov_b32_e32 v1, v3
	v_lshl_add_u64 v[0:1], v[0:1], 2, s[6:7]
	s_waitcnt vmcnt(62)
	global_store_dword v[0:1], v58, off
	v_or_b32_e32 v0, 0x3300, v2
	v_mov_b32_e32 v1, v3
	v_lshl_add_u64 v[0:1], v[0:1], 2, s[6:7]
	global_store_dword v[0:1], v59, off
	;; [unrolled: 9-line block ×7, first 2 shown]
	v_or_b32_e32 v0, 0x3e00, v2
	v_mov_b32_e32 v1, v3
	v_lshl_add_u64 v[0:1], v[0:1], 2, s[6:7]
	v_or_b32_e32 v2, 0x3f00, v2
	s_waitcnt vmcnt(62)
	global_store_dword v[0:1], v68, off
	v_lshl_add_u64 v[0:1], v[2:3], 2, s[6:7]
	global_store_dword v[0:1], v69, off
	s_endpgm
	.section	.rodata,"a",@progbits
	.p2align	6, 0x0
	.amdhsa_kernel _Z16warp_load_kernelILj256ELj64ELj64ELN6hipcub17WarpLoadAlgorithmE1EiEvPT3_S3_
		.amdhsa_group_segment_fixed_size 0
		.amdhsa_private_segment_fixed_size 0
		.amdhsa_kernarg_size 16
		.amdhsa_user_sgpr_count 2
		.amdhsa_user_sgpr_dispatch_ptr 0
		.amdhsa_user_sgpr_queue_ptr 0
		.amdhsa_user_sgpr_kernarg_segment_ptr 1
		.amdhsa_user_sgpr_dispatch_id 0
		.amdhsa_user_sgpr_kernarg_preload_length 0
		.amdhsa_user_sgpr_kernarg_preload_offset 0
		.amdhsa_user_sgpr_private_segment_size 0
		.amdhsa_uses_dynamic_stack 0
		.amdhsa_enable_private_segment 0
		.amdhsa_system_sgpr_workgroup_id_x 1
		.amdhsa_system_sgpr_workgroup_id_y 0
		.amdhsa_system_sgpr_workgroup_id_z 0
		.amdhsa_system_sgpr_workgroup_info 0
		.amdhsa_system_vgpr_workitem_id 0
		.amdhsa_next_free_vgpr 70
		.amdhsa_next_free_sgpr 8
		.amdhsa_accum_offset 72
		.amdhsa_reserve_vcc 1
		.amdhsa_float_round_mode_32 0
		.amdhsa_float_round_mode_16_64 0
		.amdhsa_float_denorm_mode_32 3
		.amdhsa_float_denorm_mode_16_64 3
		.amdhsa_dx10_clamp 1
		.amdhsa_ieee_mode 1
		.amdhsa_fp16_overflow 0
		.amdhsa_tg_split 0
		.amdhsa_exception_fp_ieee_invalid_op 0
		.amdhsa_exception_fp_denorm_src 0
		.amdhsa_exception_fp_ieee_div_zero 0
		.amdhsa_exception_fp_ieee_overflow 0
		.amdhsa_exception_fp_ieee_underflow 0
		.amdhsa_exception_fp_ieee_inexact 0
		.amdhsa_exception_int_div_zero 0
	.end_amdhsa_kernel
	.section	.text._Z16warp_load_kernelILj256ELj64ELj64ELN6hipcub17WarpLoadAlgorithmE1EiEvPT3_S3_,"axG",@progbits,_Z16warp_load_kernelILj256ELj64ELj64ELN6hipcub17WarpLoadAlgorithmE1EiEvPT3_S3_,comdat
.Lfunc_end54:
	.size	_Z16warp_load_kernelILj256ELj64ELj64ELN6hipcub17WarpLoadAlgorithmE1EiEvPT3_S3_, .Lfunc_end54-_Z16warp_load_kernelILj256ELj64ELj64ELN6hipcub17WarpLoadAlgorithmE1EiEvPT3_S3_
                                        ; -- End function
	.section	.AMDGPU.csdata,"",@progbits
; Kernel info:
; codeLenInByte = 2496
; NumSgprs: 14
; NumVgprs: 70
; NumAgprs: 0
; TotalNumVgprs: 70
; ScratchSize: 0
; MemoryBound: 0
; FloatMode: 240
; IeeeMode: 1
; LDSByteSize: 0 bytes/workgroup (compile time only)
; SGPRBlocks: 1
; VGPRBlocks: 8
; NumSGPRsForWavesPerEU: 14
; NumVGPRsForWavesPerEU: 70
; AccumOffset: 72
; Occupancy: 7
; WaveLimiterHint : 1
; COMPUTE_PGM_RSRC2:SCRATCH_EN: 0
; COMPUTE_PGM_RSRC2:USER_SGPR: 2
; COMPUTE_PGM_RSRC2:TRAP_HANDLER: 0
; COMPUTE_PGM_RSRC2:TGID_X_EN: 1
; COMPUTE_PGM_RSRC2:TGID_Y_EN: 0
; COMPUTE_PGM_RSRC2:TGID_Z_EN: 0
; COMPUTE_PGM_RSRC2:TIDIG_COMP_CNT: 0
; COMPUTE_PGM_RSRC3_GFX90A:ACCUM_OFFSET: 17
; COMPUTE_PGM_RSRC3_GFX90A:TG_SPLIT: 0
	.section	.text._Z16warp_load_kernelILj256ELj64ELj64ELN6hipcub17WarpLoadAlgorithmE2EiEvPT3_S3_,"axG",@progbits,_Z16warp_load_kernelILj256ELj64ELj64ELN6hipcub17WarpLoadAlgorithmE2EiEvPT3_S3_,comdat
	.protected	_Z16warp_load_kernelILj256ELj64ELj64ELN6hipcub17WarpLoadAlgorithmE2EiEvPT3_S3_ ; -- Begin function _Z16warp_load_kernelILj256ELj64ELj64ELN6hipcub17WarpLoadAlgorithmE2EiEvPT3_S3_
	.globl	_Z16warp_load_kernelILj256ELj64ELj64ELN6hipcub17WarpLoadAlgorithmE2EiEvPT3_S3_
	.p2align	8
	.type	_Z16warp_load_kernelILj256ELj64ELj64ELN6hipcub17WarpLoadAlgorithmE2EiEvPT3_S3_,@function
_Z16warp_load_kernelILj256ELj64ELj64ELN6hipcub17WarpLoadAlgorithmE2EiEvPT3_S3_: ; @_Z16warp_load_kernelILj256ELj64ELj64ELN6hipcub17WarpLoadAlgorithmE2EiEvPT3_S3_
; %bb.0:
	s_load_dwordx4 s[4:7], s[0:1], 0x0
	v_lshlrev_b32_e32 v4, 6, v0
	v_mbcnt_lo_u32_b32 v1, -1, 0
	s_lshl_b32 s0, s2, 14
	v_and_b32_e32 v4, 0x3000, v4
	s_waitcnt lgkmcnt(0)
	v_mov_b32_e32 v2, s4
	v_mov_b32_e32 v3, s5
	v_mbcnt_hi_u32_b32 v1, -1, v1
	v_or_b32_e32 v28, s0, v4
	v_mov_b32_e32 v29, 0
	v_lshl_add_u64 v[2:3], v[28:29], 2, v[2:3]
	v_lshlrev_b32_e32 v28, 8, v1
	v_lshl_add_u64 v[66:67], v[2:3], 0, v[28:29]
	global_load_dwordx4 v[30:33], v[66:67], off
	global_load_dwordx4 v[34:37], v[66:67], off offset:16
	global_load_dwordx4 v[38:41], v[66:67], off offset:32
	;; [unrolled: 1-line block ×4, first 2 shown]
	v_or_b32_e32 v28, s0, v0
	global_load_dwordx4 v[50:53], v[66:67], off offset:80
	global_load_dwordx4 v[54:57], v[66:67], off offset:112
	;; [unrolled: 1-line block ×11, first 2 shown]
	v_lshl_add_u64 v[66:67], v[28:29], 2, s[6:7]
	s_waitcnt vmcnt(15)
	global_store_dword v[66:67], v30, off
	global_store_dword v[66:67], v31, off offset:1024
	global_store_dword v[66:67], v32, off offset:2048
	;; [unrolled: 1-line block ×3, first 2 shown]
	v_mov_b32_e32 v31, v29
	v_or_b32_e32 v30, 0x400, v28
	v_lshl_add_u64 v[30:31], v[30:31], 2, s[6:7]
	v_mov_b32_e32 v33, v29
	s_waitcnt vmcnt(18)
	global_store_dword v[30:31], v34, off
	v_mov_b32_e32 v31, v29
	v_or_b32_e32 v32, 0x500, v28
	v_or_b32_e32 v30, 0x700, v28
	v_mov_b32_e32 v67, v29
	v_lshl_add_u64 v[32:33], v[32:33], 2, s[6:7]
	v_or_b32_e32 v66, 0x600, v28
	v_lshl_add_u64 v[30:31], v[30:31], 2, s[6:7]
	global_store_dword v[32:33], v35, off
	v_lshl_add_u64 v[34:35], v[66:67], 2, s[6:7]
	global_store_dword v[30:31], v37, off
	v_mov_b32_e32 v31, v29
	v_or_b32_e32 v30, 0xa00, v28
	v_mov_b32_e32 v33, v29
	global_store_dword v[34:35], v36, off
	v_mov_b32_e32 v35, v29
	v_mov_b32_e32 v37, v29
	v_or_b32_e32 v32, 0x800, v28
	v_or_b32_e32 v34, 0x900, v28
	v_lshl_add_u64 v[30:31], v[30:31], 2, s[6:7]
	v_or_b32_e32 v36, 0xb00, v28
	v_lshl_add_u64 v[32:33], v[32:33], 2, s[6:7]
	v_lshl_add_u64 v[34:35], v[34:35], 2, s[6:7]
	s_waitcnt vmcnt(21)
	global_store_dword v[30:31], v40, off
	v_mov_b32_e32 v31, v29
	v_lshl_add_u64 v[36:37], v[36:37], 2, s[6:7]
	v_or_b32_e32 v66, 0xc00, v28
	v_or_b32_e32 v30, 0xf00, v28
	global_store_dword v[32:33], v38, off
	v_mov_b32_e32 v33, v29
	global_store_dword v[34:35], v39, off
	v_mov_b32_e32 v35, v29
	;; [unrolled: 2-line block ×3, first 2 shown]
	v_or_b32_e32 v32, 0xd00, v28
	v_or_b32_e32 v34, 0xe00, v28
	;; [unrolled: 1-line block ×3, first 2 shown]
	v_lshl_add_u64 v[38:39], v[66:67], 2, s[6:7]
	v_lshl_add_u64 v[30:31], v[30:31], 2, s[6:7]
	;; [unrolled: 1-line block ×5, first 2 shown]
	s_waitcnt vmcnt(24)
	global_store_dword v[38:39], v42, off
	global_store_dword v[32:33], v43, off
	global_store_dword v[34:35], v44, off
	global_store_dword v[30:31], v45, off
	s_waitcnt vmcnt(27)
	global_store_dword v[36:37], v46, off
	v_or_b32_e32 v30, 0x1100, v28
	v_mov_b32_e32 v31, v29
	v_lshl_add_u64 v[30:31], v[30:31], 2, s[6:7]
	global_store_dword v[30:31], v47, off
	v_or_b32_e32 v30, 0x1200, v28
	v_mov_b32_e32 v31, v29
	v_lshl_add_u64 v[30:31], v[30:31], 2, s[6:7]
	global_store_dword v[30:31], v48, off
	v_or_b32_e32 v30, 0x1300, v28
	v_mov_b32_e32 v31, v29
	v_lshl_add_u64 v[30:31], v[30:31], 2, s[6:7]
	global_store_dword v[30:31], v49, off
	v_or_b32_e32 v30, 0x1400, v28
	v_mov_b32_e32 v31, v29
	v_lshl_add_u64 v[30:31], v[30:31], 2, s[6:7]
	s_waitcnt vmcnt(30)
	global_store_dword v[30:31], v50, off
	v_or_b32_e32 v30, 0x1500, v28
	v_mov_b32_e32 v31, v29
	v_lshl_add_u64 v[30:31], v[30:31], 2, s[6:7]
	global_store_dword v[30:31], v51, off
	v_or_b32_e32 v30, 0x1600, v28
	v_mov_b32_e32 v31, v29
	v_lshl_add_u64 v[30:31], v[30:31], 2, s[6:7]
	global_store_dword v[30:31], v52, off
	v_or_b32_e32 v30, 0x1700, v28
	v_mov_b32_e32 v31, v29
	v_lshl_add_u64 v[30:31], v[30:31], 2, s[6:7]
	global_store_dword v[30:31], v53, off
	v_or_b32_e32 v30, 0x1800, v28
	v_mov_b32_e32 v31, v29
	v_lshl_add_u64 v[30:31], v[30:31], 2, s[6:7]
	;; [unrolled: 17-line block ×3, first 2 shown]
	global_store_dword v[30:31], v54, off
	v_or_b32_e32 v30, 0x1d00, v28
	v_mov_b32_e32 v31, v29
	v_lshl_add_u64 v[30:31], v[30:31], 2, s[6:7]
	global_store_dword v[30:31], v55, off
	v_or_b32_e32 v30, 0x1e00, v28
	v_mov_b32_e32 v31, v29
	v_lshl_add_u64 v[30:31], v[30:31], 2, s[6:7]
	;; [unrolled: 4-line block ×4, first 2 shown]
	s_waitcnt vmcnt(36)
	global_store_dword v[30:31], v62, off
	v_or_b32_e32 v30, 0x2100, v28
	v_mov_b32_e32 v31, v29
	v_lshl_add_u64 v[30:31], v[30:31], 2, s[6:7]
	global_store_dword v[30:31], v63, off
	v_or_b32_e32 v30, 0x2200, v28
	v_mov_b32_e32 v31, v29
	v_lshl_add_u64 v[30:31], v[30:31], 2, s[6:7]
	;; [unrolled: 4-line block ×16, first 2 shown]
	s_waitcnt vmcnt(48)
	global_store_dword v[16:17], v12, off
	v_or_b32_e32 v16, 0x3100, v28
	v_mov_b32_e32 v17, v29
	v_lshl_add_u64 v[16:17], v[16:17], 2, s[6:7]
	global_store_dword v[16:17], v13, off
	v_or_b32_e32 v12, 0x3200, v28
	v_mov_b32_e32 v13, v29
	v_lshl_add_u64 v[12:13], v[12:13], 2, s[6:7]
	;; [unrolled: 4-line block ×14, first 2 shown]
	v_or_b32_e32 v28, 0x3f00, v28
	global_store_dword v[0:1], v2, off
	v_lshl_add_u64 v[0:1], v[28:29], 2, s[6:7]
	global_store_dword v[0:1], v3, off
	s_endpgm
	.section	.rodata,"a",@progbits
	.p2align	6, 0x0
	.amdhsa_kernel _Z16warp_load_kernelILj256ELj64ELj64ELN6hipcub17WarpLoadAlgorithmE2EiEvPT3_S3_
		.amdhsa_group_segment_fixed_size 0
		.amdhsa_private_segment_fixed_size 0
		.amdhsa_kernarg_size 16
		.amdhsa_user_sgpr_count 2
		.amdhsa_user_sgpr_dispatch_ptr 0
		.amdhsa_user_sgpr_queue_ptr 0
		.amdhsa_user_sgpr_kernarg_segment_ptr 1
		.amdhsa_user_sgpr_dispatch_id 0
		.amdhsa_user_sgpr_kernarg_preload_length 0
		.amdhsa_user_sgpr_kernarg_preload_offset 0
		.amdhsa_user_sgpr_private_segment_size 0
		.amdhsa_uses_dynamic_stack 0
		.amdhsa_enable_private_segment 0
		.amdhsa_system_sgpr_workgroup_id_x 1
		.amdhsa_system_sgpr_workgroup_id_y 0
		.amdhsa_system_sgpr_workgroup_id_z 0
		.amdhsa_system_sgpr_workgroup_info 0
		.amdhsa_system_vgpr_workitem_id 0
		.amdhsa_next_free_vgpr 68
		.amdhsa_next_free_sgpr 8
		.amdhsa_accum_offset 68
		.amdhsa_reserve_vcc 0
		.amdhsa_float_round_mode_32 0
		.amdhsa_float_round_mode_16_64 0
		.amdhsa_float_denorm_mode_32 3
		.amdhsa_float_denorm_mode_16_64 3
		.amdhsa_dx10_clamp 1
		.amdhsa_ieee_mode 1
		.amdhsa_fp16_overflow 0
		.amdhsa_tg_split 0
		.amdhsa_exception_fp_ieee_invalid_op 0
		.amdhsa_exception_fp_denorm_src 0
		.amdhsa_exception_fp_ieee_div_zero 0
		.amdhsa_exception_fp_ieee_overflow 0
		.amdhsa_exception_fp_ieee_underflow 0
		.amdhsa_exception_fp_ieee_inexact 0
		.amdhsa_exception_int_div_zero 0
	.end_amdhsa_kernel
	.section	.text._Z16warp_load_kernelILj256ELj64ELj64ELN6hipcub17WarpLoadAlgorithmE2EiEvPT3_S3_,"axG",@progbits,_Z16warp_load_kernelILj256ELj64ELj64ELN6hipcub17WarpLoadAlgorithmE2EiEvPT3_S3_,comdat
.Lfunc_end55:
	.size	_Z16warp_load_kernelILj256ELj64ELj64ELN6hipcub17WarpLoadAlgorithmE2EiEvPT3_S3_, .Lfunc_end55-_Z16warp_load_kernelILj256ELj64ELj64ELN6hipcub17WarpLoadAlgorithmE2EiEvPT3_S3_
                                        ; -- End function
	.section	.AMDGPU.csdata,"",@progbits
; Kernel info:
; codeLenInByte = 1964
; NumSgprs: 14
; NumVgprs: 68
; NumAgprs: 0
; TotalNumVgprs: 68
; ScratchSize: 0
; MemoryBound: 0
; FloatMode: 240
; IeeeMode: 1
; LDSByteSize: 0 bytes/workgroup (compile time only)
; SGPRBlocks: 1
; VGPRBlocks: 8
; NumSGPRsForWavesPerEU: 14
; NumVGPRsForWavesPerEU: 68
; AccumOffset: 68
; Occupancy: 7
; WaveLimiterHint : 1
; COMPUTE_PGM_RSRC2:SCRATCH_EN: 0
; COMPUTE_PGM_RSRC2:USER_SGPR: 2
; COMPUTE_PGM_RSRC2:TRAP_HANDLER: 0
; COMPUTE_PGM_RSRC2:TGID_X_EN: 1
; COMPUTE_PGM_RSRC2:TGID_Y_EN: 0
; COMPUTE_PGM_RSRC2:TGID_Z_EN: 0
; COMPUTE_PGM_RSRC2:TIDIG_COMP_CNT: 0
; COMPUTE_PGM_RSRC3_GFX90A:ACCUM_OFFSET: 16
; COMPUTE_PGM_RSRC3_GFX90A:TG_SPLIT: 0
	.section	.text._Z16warp_load_kernelILj256ELj4ELj64ELN6hipcub17WarpLoadAlgorithmE0EdEvPT3_S3_,"axG",@progbits,_Z16warp_load_kernelILj256ELj4ELj64ELN6hipcub17WarpLoadAlgorithmE0EdEvPT3_S3_,comdat
	.protected	_Z16warp_load_kernelILj256ELj4ELj64ELN6hipcub17WarpLoadAlgorithmE0EdEvPT3_S3_ ; -- Begin function _Z16warp_load_kernelILj256ELj4ELj64ELN6hipcub17WarpLoadAlgorithmE0EdEvPT3_S3_
	.globl	_Z16warp_load_kernelILj256ELj4ELj64ELN6hipcub17WarpLoadAlgorithmE0EdEvPT3_S3_
	.p2align	8
	.type	_Z16warp_load_kernelILj256ELj4ELj64ELN6hipcub17WarpLoadAlgorithmE0EdEvPT3_S3_,@function
_Z16warp_load_kernelILj256ELj4ELj64ELN6hipcub17WarpLoadAlgorithmE0EdEvPT3_S3_: ; @_Z16warp_load_kernelILj256ELj4ELj64ELN6hipcub17WarpLoadAlgorithmE0EdEvPT3_S3_
; %bb.0:
	s_load_dwordx4 s[4:7], s[0:1], 0x0
	v_lshlrev_b32_e32 v4, 2, v0
	v_mbcnt_lo_u32_b32 v1, -1, 0
	s_lshl_b32 s0, s2, 10
	v_and_b32_e32 v4, 0x300, v4
	s_waitcnt lgkmcnt(0)
	v_mov_b32_e32 v2, s4
	v_mov_b32_e32 v3, s5
	v_mbcnt_hi_u32_b32 v1, -1, v1
	v_or_b32_e32 v10, s0, v4
	v_mov_b32_e32 v11, 0
	v_lshl_add_u64 v[2:3], v[10:11], 3, v[2:3]
	v_lshlrev_b32_e32 v10, 5, v1
	v_lshl_add_u64 v[12:13], v[2:3], 0, v[10:11]
	global_load_dwordx4 v[2:5], v[12:13], off
	global_load_dwordx4 v[6:9], v[12:13], off offset:16
	v_or_b32_e32 v10, s0, v0
	v_mov_b32_e32 v1, v11
	v_mov_b32_e32 v13, v11
	v_lshl_add_u64 v[14:15], v[10:11], 3, s[6:7]
	v_or_b32_e32 v0, 0x100, v10
	v_or_b32_e32 v12, 0x200, v10
	;; [unrolled: 1-line block ×3, first 2 shown]
	v_lshl_add_u64 v[0:1], v[0:1], 3, s[6:7]
	v_lshl_add_u64 v[12:13], v[12:13], 3, s[6:7]
	;; [unrolled: 1-line block ×3, first 2 shown]
	s_waitcnt vmcnt(1)
	global_store_dwordx2 v[14:15], v[2:3], off
	global_store_dwordx2 v[0:1], v[4:5], off
	s_waitcnt vmcnt(2)
	global_store_dwordx2 v[12:13], v[6:7], off
	global_store_dwordx2 v[10:11], v[8:9], off
	s_endpgm
	.section	.rodata,"a",@progbits
	.p2align	6, 0x0
	.amdhsa_kernel _Z16warp_load_kernelILj256ELj4ELj64ELN6hipcub17WarpLoadAlgorithmE0EdEvPT3_S3_
		.amdhsa_group_segment_fixed_size 0
		.amdhsa_private_segment_fixed_size 0
		.amdhsa_kernarg_size 16
		.amdhsa_user_sgpr_count 2
		.amdhsa_user_sgpr_dispatch_ptr 0
		.amdhsa_user_sgpr_queue_ptr 0
		.amdhsa_user_sgpr_kernarg_segment_ptr 1
		.amdhsa_user_sgpr_dispatch_id 0
		.amdhsa_user_sgpr_kernarg_preload_length 0
		.amdhsa_user_sgpr_kernarg_preload_offset 0
		.amdhsa_user_sgpr_private_segment_size 0
		.amdhsa_uses_dynamic_stack 0
		.amdhsa_enable_private_segment 0
		.amdhsa_system_sgpr_workgroup_id_x 1
		.amdhsa_system_sgpr_workgroup_id_y 0
		.amdhsa_system_sgpr_workgroup_id_z 0
		.amdhsa_system_sgpr_workgroup_info 0
		.amdhsa_system_vgpr_workitem_id 0
		.amdhsa_next_free_vgpr 16
		.amdhsa_next_free_sgpr 8
		.amdhsa_accum_offset 16
		.amdhsa_reserve_vcc 0
		.amdhsa_float_round_mode_32 0
		.amdhsa_float_round_mode_16_64 0
		.amdhsa_float_denorm_mode_32 3
		.amdhsa_float_denorm_mode_16_64 3
		.amdhsa_dx10_clamp 1
		.amdhsa_ieee_mode 1
		.amdhsa_fp16_overflow 0
		.amdhsa_tg_split 0
		.amdhsa_exception_fp_ieee_invalid_op 0
		.amdhsa_exception_fp_denorm_src 0
		.amdhsa_exception_fp_ieee_div_zero 0
		.amdhsa_exception_fp_ieee_overflow 0
		.amdhsa_exception_fp_ieee_underflow 0
		.amdhsa_exception_fp_ieee_inexact 0
		.amdhsa_exception_int_div_zero 0
	.end_amdhsa_kernel
	.section	.text._Z16warp_load_kernelILj256ELj4ELj64ELN6hipcub17WarpLoadAlgorithmE0EdEvPT3_S3_,"axG",@progbits,_Z16warp_load_kernelILj256ELj4ELj64ELN6hipcub17WarpLoadAlgorithmE0EdEvPT3_S3_,comdat
.Lfunc_end56:
	.size	_Z16warp_load_kernelILj256ELj4ELj64ELN6hipcub17WarpLoadAlgorithmE0EdEvPT3_S3_, .Lfunc_end56-_Z16warp_load_kernelILj256ELj4ELj64ELN6hipcub17WarpLoadAlgorithmE0EdEvPT3_S3_
                                        ; -- End function
	.section	.AMDGPU.csdata,"",@progbits
; Kernel info:
; codeLenInByte = 208
; NumSgprs: 14
; NumVgprs: 16
; NumAgprs: 0
; TotalNumVgprs: 16
; ScratchSize: 0
; MemoryBound: 0
; FloatMode: 240
; IeeeMode: 1
; LDSByteSize: 0 bytes/workgroup (compile time only)
; SGPRBlocks: 1
; VGPRBlocks: 1
; NumSGPRsForWavesPerEU: 14
; NumVGPRsForWavesPerEU: 16
; AccumOffset: 16
; Occupancy: 8
; WaveLimiterHint : 0
; COMPUTE_PGM_RSRC2:SCRATCH_EN: 0
; COMPUTE_PGM_RSRC2:USER_SGPR: 2
; COMPUTE_PGM_RSRC2:TRAP_HANDLER: 0
; COMPUTE_PGM_RSRC2:TGID_X_EN: 1
; COMPUTE_PGM_RSRC2:TGID_Y_EN: 0
; COMPUTE_PGM_RSRC2:TGID_Z_EN: 0
; COMPUTE_PGM_RSRC2:TIDIG_COMP_CNT: 0
; COMPUTE_PGM_RSRC3_GFX90A:ACCUM_OFFSET: 3
; COMPUTE_PGM_RSRC3_GFX90A:TG_SPLIT: 0
	.section	.text._Z16warp_load_kernelILj256ELj4ELj64ELN6hipcub17WarpLoadAlgorithmE1EdEvPT3_S3_,"axG",@progbits,_Z16warp_load_kernelILj256ELj4ELj64ELN6hipcub17WarpLoadAlgorithmE1EdEvPT3_S3_,comdat
	.protected	_Z16warp_load_kernelILj256ELj4ELj64ELN6hipcub17WarpLoadAlgorithmE1EdEvPT3_S3_ ; -- Begin function _Z16warp_load_kernelILj256ELj4ELj64ELN6hipcub17WarpLoadAlgorithmE1EdEvPT3_S3_
	.globl	_Z16warp_load_kernelILj256ELj4ELj64ELN6hipcub17WarpLoadAlgorithmE1EdEvPT3_S3_
	.p2align	8
	.type	_Z16warp_load_kernelILj256ELj4ELj64ELN6hipcub17WarpLoadAlgorithmE1EdEvPT3_S3_,@function
_Z16warp_load_kernelILj256ELj4ELj64ELN6hipcub17WarpLoadAlgorithmE1EdEvPT3_S3_: ; @_Z16warp_load_kernelILj256ELj4ELj64ELN6hipcub17WarpLoadAlgorithmE1EdEvPT3_S3_
; %bb.0:
	s_load_dwordx4 s[4:7], s[0:1], 0x0
	v_lshlrev_b32_e32 v4, 2, v0
	v_mbcnt_lo_u32_b32 v1, -1, 0
	s_lshl_b32 s0, s2, 10
	v_and_b32_e32 v4, 0x300, v4
	s_waitcnt lgkmcnt(0)
	v_mov_b32_e32 v2, s4
	v_mov_b32_e32 v3, s5
	v_mbcnt_hi_u32_b32 v1, -1, v1
	v_or_b32_e32 v4, s0, v4
	v_mov_b32_e32 v5, 0
	v_lshl_add_u64 v[2:3], v[4:5], 3, v[2:3]
	v_lshlrev_b32_e32 v4, 3, v1
	v_lshlrev_b32_e32 v1, 5, v1
	v_lshl_add_u64 v[2:3], v[2:3], 0, v[4:5]
	v_and_b32_e32 v4, 0x800, v1
	v_lshl_add_u64 v[2:3], v[2:3], 0, v[4:5]
	global_load_dwordx2 v[6:7], v[2:3], off
	global_load_dwordx2 v[8:9], v[2:3], off offset:512
	global_load_dwordx2 v[10:11], v[2:3], off offset:1024
	;; [unrolled: 1-line block ×3, first 2 shown]
	v_or_b32_e32 v4, s0, v0
	v_mov_b32_e32 v1, v5
	v_mov_b32_e32 v3, v5
	v_lshl_add_u64 v[14:15], v[4:5], 3, s[6:7]
	v_or_b32_e32 v0, 0x100, v4
	v_or_b32_e32 v2, 0x200, v4
	;; [unrolled: 1-line block ×3, first 2 shown]
	v_lshl_add_u64 v[0:1], v[0:1], 3, s[6:7]
	v_lshl_add_u64 v[2:3], v[2:3], 3, s[6:7]
	;; [unrolled: 1-line block ×3, first 2 shown]
	s_waitcnt vmcnt(3)
	global_store_dwordx2 v[14:15], v[6:7], off
	s_waitcnt vmcnt(3)
	global_store_dwordx2 v[0:1], v[8:9], off
	s_waitcnt vmcnt(3)
	global_store_dwordx2 v[2:3], v[10:11], off
	s_waitcnt vmcnt(3)
	global_store_dwordx2 v[4:5], v[12:13], off
	s_endpgm
	.section	.rodata,"a",@progbits
	.p2align	6, 0x0
	.amdhsa_kernel _Z16warp_load_kernelILj256ELj4ELj64ELN6hipcub17WarpLoadAlgorithmE1EdEvPT3_S3_
		.amdhsa_group_segment_fixed_size 0
		.amdhsa_private_segment_fixed_size 0
		.amdhsa_kernarg_size 16
		.amdhsa_user_sgpr_count 2
		.amdhsa_user_sgpr_dispatch_ptr 0
		.amdhsa_user_sgpr_queue_ptr 0
		.amdhsa_user_sgpr_kernarg_segment_ptr 1
		.amdhsa_user_sgpr_dispatch_id 0
		.amdhsa_user_sgpr_kernarg_preload_length 0
		.amdhsa_user_sgpr_kernarg_preload_offset 0
		.amdhsa_user_sgpr_private_segment_size 0
		.amdhsa_uses_dynamic_stack 0
		.amdhsa_enable_private_segment 0
		.amdhsa_system_sgpr_workgroup_id_x 1
		.amdhsa_system_sgpr_workgroup_id_y 0
		.amdhsa_system_sgpr_workgroup_id_z 0
		.amdhsa_system_sgpr_workgroup_info 0
		.amdhsa_system_vgpr_workitem_id 0
		.amdhsa_next_free_vgpr 16
		.amdhsa_next_free_sgpr 8
		.amdhsa_accum_offset 16
		.amdhsa_reserve_vcc 0
		.amdhsa_float_round_mode_32 0
		.amdhsa_float_round_mode_16_64 0
		.amdhsa_float_denorm_mode_32 3
		.amdhsa_float_denorm_mode_16_64 3
		.amdhsa_dx10_clamp 1
		.amdhsa_ieee_mode 1
		.amdhsa_fp16_overflow 0
		.amdhsa_tg_split 0
		.amdhsa_exception_fp_ieee_invalid_op 0
		.amdhsa_exception_fp_denorm_src 0
		.amdhsa_exception_fp_ieee_div_zero 0
		.amdhsa_exception_fp_ieee_overflow 0
		.amdhsa_exception_fp_ieee_underflow 0
		.amdhsa_exception_fp_ieee_inexact 0
		.amdhsa_exception_int_div_zero 0
	.end_amdhsa_kernel
	.section	.text._Z16warp_load_kernelILj256ELj4ELj64ELN6hipcub17WarpLoadAlgorithmE1EdEvPT3_S3_,"axG",@progbits,_Z16warp_load_kernelILj256ELj4ELj64ELN6hipcub17WarpLoadAlgorithmE1EdEvPT3_S3_,comdat
.Lfunc_end57:
	.size	_Z16warp_load_kernelILj256ELj4ELj64ELN6hipcub17WarpLoadAlgorithmE1EdEvPT3_S3_, .Lfunc_end57-_Z16warp_load_kernelILj256ELj4ELj64ELN6hipcub17WarpLoadAlgorithmE1EdEvPT3_S3_
                                        ; -- End function
	.section	.AMDGPU.csdata,"",@progbits
; Kernel info:
; codeLenInByte = 252
; NumSgprs: 14
; NumVgprs: 16
; NumAgprs: 0
; TotalNumVgprs: 16
; ScratchSize: 0
; MemoryBound: 0
; FloatMode: 240
; IeeeMode: 1
; LDSByteSize: 0 bytes/workgroup (compile time only)
; SGPRBlocks: 1
; VGPRBlocks: 1
; NumSGPRsForWavesPerEU: 14
; NumVGPRsForWavesPerEU: 16
; AccumOffset: 16
; Occupancy: 8
; WaveLimiterHint : 1
; COMPUTE_PGM_RSRC2:SCRATCH_EN: 0
; COMPUTE_PGM_RSRC2:USER_SGPR: 2
; COMPUTE_PGM_RSRC2:TRAP_HANDLER: 0
; COMPUTE_PGM_RSRC2:TGID_X_EN: 1
; COMPUTE_PGM_RSRC2:TGID_Y_EN: 0
; COMPUTE_PGM_RSRC2:TGID_Z_EN: 0
; COMPUTE_PGM_RSRC2:TIDIG_COMP_CNT: 0
; COMPUTE_PGM_RSRC3_GFX90A:ACCUM_OFFSET: 3
; COMPUTE_PGM_RSRC3_GFX90A:TG_SPLIT: 0
	.section	.text._Z16warp_load_kernelILj256ELj4ELj64ELN6hipcub17WarpLoadAlgorithmE2EdEvPT3_S3_,"axG",@progbits,_Z16warp_load_kernelILj256ELj4ELj64ELN6hipcub17WarpLoadAlgorithmE2EdEvPT3_S3_,comdat
	.protected	_Z16warp_load_kernelILj256ELj4ELj64ELN6hipcub17WarpLoadAlgorithmE2EdEvPT3_S3_ ; -- Begin function _Z16warp_load_kernelILj256ELj4ELj64ELN6hipcub17WarpLoadAlgorithmE2EdEvPT3_S3_
	.globl	_Z16warp_load_kernelILj256ELj4ELj64ELN6hipcub17WarpLoadAlgorithmE2EdEvPT3_S3_
	.p2align	8
	.type	_Z16warp_load_kernelILj256ELj4ELj64ELN6hipcub17WarpLoadAlgorithmE2EdEvPT3_S3_,@function
_Z16warp_load_kernelILj256ELj4ELj64ELN6hipcub17WarpLoadAlgorithmE2EdEvPT3_S3_: ; @_Z16warp_load_kernelILj256ELj4ELj64ELN6hipcub17WarpLoadAlgorithmE2EdEvPT3_S3_
; %bb.0:
	s_load_dwordx4 s[4:7], s[0:1], 0x0
	v_lshlrev_b32_e32 v4, 2, v0
	v_mbcnt_lo_u32_b32 v1, -1, 0
	s_lshl_b32 s0, s2, 10
	v_and_b32_e32 v4, 0x300, v4
	s_waitcnt lgkmcnt(0)
	v_mov_b32_e32 v2, s4
	v_mov_b32_e32 v3, s5
	v_mbcnt_hi_u32_b32 v1, -1, v1
	v_or_b32_e32 v10, s0, v4
	v_mov_b32_e32 v11, 0
	v_lshl_add_u64 v[2:3], v[10:11], 3, v[2:3]
	v_lshlrev_b32_e32 v10, 5, v1
	v_lshl_add_u64 v[12:13], v[2:3], 0, v[10:11]
	global_load_dwordx4 v[2:5], v[12:13], off
	global_load_dwordx4 v[6:9], v[12:13], off offset:16
	v_or_b32_e32 v10, s0, v0
	v_mov_b32_e32 v1, v11
	v_mov_b32_e32 v13, v11
	v_lshl_add_u64 v[14:15], v[10:11], 3, s[6:7]
	v_or_b32_e32 v0, 0x100, v10
	v_or_b32_e32 v12, 0x200, v10
	;; [unrolled: 1-line block ×3, first 2 shown]
	v_lshl_add_u64 v[0:1], v[0:1], 3, s[6:7]
	v_lshl_add_u64 v[12:13], v[12:13], 3, s[6:7]
	;; [unrolled: 1-line block ×3, first 2 shown]
	s_waitcnt vmcnt(1)
	global_store_dwordx2 v[14:15], v[2:3], off
	global_store_dwordx2 v[0:1], v[4:5], off
	s_waitcnt vmcnt(2)
	global_store_dwordx2 v[12:13], v[6:7], off
	global_store_dwordx2 v[10:11], v[8:9], off
	s_endpgm
	.section	.rodata,"a",@progbits
	.p2align	6, 0x0
	.amdhsa_kernel _Z16warp_load_kernelILj256ELj4ELj64ELN6hipcub17WarpLoadAlgorithmE2EdEvPT3_S3_
		.amdhsa_group_segment_fixed_size 0
		.amdhsa_private_segment_fixed_size 0
		.amdhsa_kernarg_size 16
		.amdhsa_user_sgpr_count 2
		.amdhsa_user_sgpr_dispatch_ptr 0
		.amdhsa_user_sgpr_queue_ptr 0
		.amdhsa_user_sgpr_kernarg_segment_ptr 1
		.amdhsa_user_sgpr_dispatch_id 0
		.amdhsa_user_sgpr_kernarg_preload_length 0
		.amdhsa_user_sgpr_kernarg_preload_offset 0
		.amdhsa_user_sgpr_private_segment_size 0
		.amdhsa_uses_dynamic_stack 0
		.amdhsa_enable_private_segment 0
		.amdhsa_system_sgpr_workgroup_id_x 1
		.amdhsa_system_sgpr_workgroup_id_y 0
		.amdhsa_system_sgpr_workgroup_id_z 0
		.amdhsa_system_sgpr_workgroup_info 0
		.amdhsa_system_vgpr_workitem_id 0
		.amdhsa_next_free_vgpr 16
		.amdhsa_next_free_sgpr 8
		.amdhsa_accum_offset 16
		.amdhsa_reserve_vcc 0
		.amdhsa_float_round_mode_32 0
		.amdhsa_float_round_mode_16_64 0
		.amdhsa_float_denorm_mode_32 3
		.amdhsa_float_denorm_mode_16_64 3
		.amdhsa_dx10_clamp 1
		.amdhsa_ieee_mode 1
		.amdhsa_fp16_overflow 0
		.amdhsa_tg_split 0
		.amdhsa_exception_fp_ieee_invalid_op 0
		.amdhsa_exception_fp_denorm_src 0
		.amdhsa_exception_fp_ieee_div_zero 0
		.amdhsa_exception_fp_ieee_overflow 0
		.amdhsa_exception_fp_ieee_underflow 0
		.amdhsa_exception_fp_ieee_inexact 0
		.amdhsa_exception_int_div_zero 0
	.end_amdhsa_kernel
	.section	.text._Z16warp_load_kernelILj256ELj4ELj64ELN6hipcub17WarpLoadAlgorithmE2EdEvPT3_S3_,"axG",@progbits,_Z16warp_load_kernelILj256ELj4ELj64ELN6hipcub17WarpLoadAlgorithmE2EdEvPT3_S3_,comdat
.Lfunc_end58:
	.size	_Z16warp_load_kernelILj256ELj4ELj64ELN6hipcub17WarpLoadAlgorithmE2EdEvPT3_S3_, .Lfunc_end58-_Z16warp_load_kernelILj256ELj4ELj64ELN6hipcub17WarpLoadAlgorithmE2EdEvPT3_S3_
                                        ; -- End function
	.section	.AMDGPU.csdata,"",@progbits
; Kernel info:
; codeLenInByte = 208
; NumSgprs: 14
; NumVgprs: 16
; NumAgprs: 0
; TotalNumVgprs: 16
; ScratchSize: 0
; MemoryBound: 0
; FloatMode: 240
; IeeeMode: 1
; LDSByteSize: 0 bytes/workgroup (compile time only)
; SGPRBlocks: 1
; VGPRBlocks: 1
; NumSGPRsForWavesPerEU: 14
; NumVGPRsForWavesPerEU: 16
; AccumOffset: 16
; Occupancy: 8
; WaveLimiterHint : 0
; COMPUTE_PGM_RSRC2:SCRATCH_EN: 0
; COMPUTE_PGM_RSRC2:USER_SGPR: 2
; COMPUTE_PGM_RSRC2:TRAP_HANDLER: 0
; COMPUTE_PGM_RSRC2:TGID_X_EN: 1
; COMPUTE_PGM_RSRC2:TGID_Y_EN: 0
; COMPUTE_PGM_RSRC2:TGID_Z_EN: 0
; COMPUTE_PGM_RSRC2:TIDIG_COMP_CNT: 0
; COMPUTE_PGM_RSRC3_GFX90A:ACCUM_OFFSET: 3
; COMPUTE_PGM_RSRC3_GFX90A:TG_SPLIT: 0
	.section	.text._Z16warp_load_kernelILj256ELj4ELj64ELN6hipcub17WarpLoadAlgorithmE3EdEvPT3_S3_,"axG",@progbits,_Z16warp_load_kernelILj256ELj4ELj64ELN6hipcub17WarpLoadAlgorithmE3EdEvPT3_S3_,comdat
	.protected	_Z16warp_load_kernelILj256ELj4ELj64ELN6hipcub17WarpLoadAlgorithmE3EdEvPT3_S3_ ; -- Begin function _Z16warp_load_kernelILj256ELj4ELj64ELN6hipcub17WarpLoadAlgorithmE3EdEvPT3_S3_
	.globl	_Z16warp_load_kernelILj256ELj4ELj64ELN6hipcub17WarpLoadAlgorithmE3EdEvPT3_S3_
	.p2align	8
	.type	_Z16warp_load_kernelILj256ELj4ELj64ELN6hipcub17WarpLoadAlgorithmE3EdEvPT3_S3_,@function
_Z16warp_load_kernelILj256ELj4ELj64ELN6hipcub17WarpLoadAlgorithmE3EdEvPT3_S3_: ; @_Z16warp_load_kernelILj256ELj4ELj64ELN6hipcub17WarpLoadAlgorithmE3EdEvPT3_S3_
; %bb.0:
	s_load_dwordx4 s[4:7], s[0:1], 0x0
	v_lshrrev_b32_e32 v1, 6, v0
	v_mbcnt_lo_u32_b32 v4, -1, 0
	s_lshl_b32 s0, s2, 10
	v_mbcnt_hi_u32_b32 v4, -1, v4
	s_waitcnt lgkmcnt(0)
	v_mov_b32_e32 v2, s4
	v_mov_b32_e32 v3, s5
	v_lshl_or_b32 v8, v1, 8, s0
	v_mov_b32_e32 v9, 0
	v_lshl_add_u64 v[2:3], v[8:9], 3, v[2:3]
	v_lshlrev_b32_e32 v8, 3, v4
	v_lshlrev_b32_e32 v14, 5, v4
	v_lshl_add_u64 v[2:3], v[2:3], 0, v[8:9]
	v_and_b32_e32 v4, 0x800, v14
	v_mov_b32_e32 v5, v9
	v_lshl_add_u64 v[2:3], v[2:3], 0, v[4:5]
	global_load_dwordx2 v[4:5], v[2:3], off
	global_load_dwordx2 v[6:7], v[2:3], off offset:512
	global_load_dwordx2 v[10:11], v[2:3], off offset:1024
	;; [unrolled: 1-line block ×3, first 2 shown]
	v_lshlrev_b32_e32 v1, 11, v1
	v_add_u32_e32 v20, v1, v14
	v_or_b32_e32 v1, v1, v8
	v_or_b32_e32 v8, s0, v0
	v_mov_b32_e32 v15, v9
	v_mov_b32_e32 v17, v9
	v_lshl_add_u64 v[18:19], v[8:9], 3, s[6:7]
	v_or_b32_e32 v14, 0x100, v8
	v_or_b32_e32 v16, 0x200, v8
	;; [unrolled: 1-line block ×3, first 2 shown]
	v_lshl_add_u64 v[8:9], v[8:9], 3, s[6:7]
	s_waitcnt vmcnt(2)
	ds_write2st64_b64 v1, v[4:5], v[6:7] offset1:1
	s_waitcnt vmcnt(0)
	ds_write2st64_b64 v1, v[10:11], v[12:13] offset0:2 offset1:3
	; wave barrier
	ds_read_b128 v[0:3], v20
	ds_read_b128 v[4:7], v20 offset:16
	v_lshl_add_u64 v[10:11], v[14:15], 3, s[6:7]
	v_lshl_add_u64 v[12:13], v[16:17], 3, s[6:7]
	s_waitcnt lgkmcnt(1)
	global_store_dwordx2 v[18:19], v[0:1], off
	global_store_dwordx2 v[10:11], v[2:3], off
	s_waitcnt lgkmcnt(0)
	global_store_dwordx2 v[12:13], v[4:5], off
	global_store_dwordx2 v[8:9], v[6:7], off
	s_endpgm
	.section	.rodata,"a",@progbits
	.p2align	6, 0x0
	.amdhsa_kernel _Z16warp_load_kernelILj256ELj4ELj64ELN6hipcub17WarpLoadAlgorithmE3EdEvPT3_S3_
		.amdhsa_group_segment_fixed_size 8192
		.amdhsa_private_segment_fixed_size 0
		.amdhsa_kernarg_size 16
		.amdhsa_user_sgpr_count 2
		.amdhsa_user_sgpr_dispatch_ptr 0
		.amdhsa_user_sgpr_queue_ptr 0
		.amdhsa_user_sgpr_kernarg_segment_ptr 1
		.amdhsa_user_sgpr_dispatch_id 0
		.amdhsa_user_sgpr_kernarg_preload_length 0
		.amdhsa_user_sgpr_kernarg_preload_offset 0
		.amdhsa_user_sgpr_private_segment_size 0
		.amdhsa_uses_dynamic_stack 0
		.amdhsa_enable_private_segment 0
		.amdhsa_system_sgpr_workgroup_id_x 1
		.amdhsa_system_sgpr_workgroup_id_y 0
		.amdhsa_system_sgpr_workgroup_id_z 0
		.amdhsa_system_sgpr_workgroup_info 0
		.amdhsa_system_vgpr_workitem_id 0
		.amdhsa_next_free_vgpr 21
		.amdhsa_next_free_sgpr 8
		.amdhsa_accum_offset 24
		.amdhsa_reserve_vcc 0
		.amdhsa_float_round_mode_32 0
		.amdhsa_float_round_mode_16_64 0
		.amdhsa_float_denorm_mode_32 3
		.amdhsa_float_denorm_mode_16_64 3
		.amdhsa_dx10_clamp 1
		.amdhsa_ieee_mode 1
		.amdhsa_fp16_overflow 0
		.amdhsa_tg_split 0
		.amdhsa_exception_fp_ieee_invalid_op 0
		.amdhsa_exception_fp_denorm_src 0
		.amdhsa_exception_fp_ieee_div_zero 0
		.amdhsa_exception_fp_ieee_overflow 0
		.amdhsa_exception_fp_ieee_underflow 0
		.amdhsa_exception_fp_ieee_inexact 0
		.amdhsa_exception_int_div_zero 0
	.end_amdhsa_kernel
	.section	.text._Z16warp_load_kernelILj256ELj4ELj64ELN6hipcub17WarpLoadAlgorithmE3EdEvPT3_S3_,"axG",@progbits,_Z16warp_load_kernelILj256ELj4ELj64ELN6hipcub17WarpLoadAlgorithmE3EdEvPT3_S3_,comdat
.Lfunc_end59:
	.size	_Z16warp_load_kernelILj256ELj4ELj64ELN6hipcub17WarpLoadAlgorithmE3EdEvPT3_S3_, .Lfunc_end59-_Z16warp_load_kernelILj256ELj4ELj64ELN6hipcub17WarpLoadAlgorithmE3EdEvPT3_S3_
                                        ; -- End function
	.section	.AMDGPU.csdata,"",@progbits
; Kernel info:
; codeLenInByte = 296
; NumSgprs: 14
; NumVgprs: 21
; NumAgprs: 0
; TotalNumVgprs: 21
; ScratchSize: 0
; MemoryBound: 0
; FloatMode: 240
; IeeeMode: 1
; LDSByteSize: 8192 bytes/workgroup (compile time only)
; SGPRBlocks: 1
; VGPRBlocks: 2
; NumSGPRsForWavesPerEU: 14
; NumVGPRsForWavesPerEU: 21
; AccumOffset: 24
; Occupancy: 8
; WaveLimiterHint : 1
; COMPUTE_PGM_RSRC2:SCRATCH_EN: 0
; COMPUTE_PGM_RSRC2:USER_SGPR: 2
; COMPUTE_PGM_RSRC2:TRAP_HANDLER: 0
; COMPUTE_PGM_RSRC2:TGID_X_EN: 1
; COMPUTE_PGM_RSRC2:TGID_Y_EN: 0
; COMPUTE_PGM_RSRC2:TGID_Z_EN: 0
; COMPUTE_PGM_RSRC2:TIDIG_COMP_CNT: 0
; COMPUTE_PGM_RSRC3_GFX90A:ACCUM_OFFSET: 5
; COMPUTE_PGM_RSRC3_GFX90A:TG_SPLIT: 0
	.section	.text._Z16warp_load_kernelILj256ELj8ELj64ELN6hipcub17WarpLoadAlgorithmE0EdEvPT3_S3_,"axG",@progbits,_Z16warp_load_kernelILj256ELj8ELj64ELN6hipcub17WarpLoadAlgorithmE0EdEvPT3_S3_,comdat
	.protected	_Z16warp_load_kernelILj256ELj8ELj64ELN6hipcub17WarpLoadAlgorithmE0EdEvPT3_S3_ ; -- Begin function _Z16warp_load_kernelILj256ELj8ELj64ELN6hipcub17WarpLoadAlgorithmE0EdEvPT3_S3_
	.globl	_Z16warp_load_kernelILj256ELj8ELj64ELN6hipcub17WarpLoadAlgorithmE0EdEvPT3_S3_
	.p2align	8
	.type	_Z16warp_load_kernelILj256ELj8ELj64ELN6hipcub17WarpLoadAlgorithmE0EdEvPT3_S3_,@function
_Z16warp_load_kernelILj256ELj8ELj64ELN6hipcub17WarpLoadAlgorithmE0EdEvPT3_S3_: ; @_Z16warp_load_kernelILj256ELj8ELj64ELN6hipcub17WarpLoadAlgorithmE0EdEvPT3_S3_
; %bb.0:
	s_load_dwordx4 s[4:7], s[0:1], 0x0
	v_lshlrev_b32_e32 v4, 3, v0
	v_mbcnt_lo_u32_b32 v1, -1, 0
	s_lshl_b32 s0, s2, 11
	v_and_b32_e32 v4, 0x600, v4
	s_waitcnt lgkmcnt(0)
	v_mov_b32_e32 v2, s4
	v_mov_b32_e32 v3, s5
	v_mbcnt_hi_u32_b32 v1, -1, v1
	v_or_b32_e32 v18, s0, v4
	v_mov_b32_e32 v19, 0
	v_lshl_add_u64 v[2:3], v[18:19], 3, v[2:3]
	v_lshlrev_b32_e32 v18, 6, v1
	v_lshl_add_u64 v[20:21], v[2:3], 0, v[18:19]
	global_load_dwordx4 v[2:5], v[20:21], off
	global_load_dwordx4 v[6:9], v[20:21], off offset:16
	global_load_dwordx4 v[10:13], v[20:21], off offset:32
	global_load_dwordx4 v[14:17], v[20:21], off offset:48
	v_or_b32_e32 v18, s0, v0
	v_mov_b32_e32 v1, v19
	v_mov_b32_e32 v21, v19
	;; [unrolled: 1-line block ×5, first 2 shown]
	v_lshl_add_u64 v[28:29], v[18:19], 3, s[6:7]
	v_or_b32_e32 v0, 0x200, v18
	v_or_b32_e32 v20, 0x300, v18
	;; [unrolled: 1-line block ×6, first 2 shown]
	v_lshl_add_u64 v[0:1], v[0:1], 3, s[6:7]
	v_lshl_add_u64 v[20:21], v[20:21], 3, s[6:7]
	v_lshl_add_u64 v[22:23], v[22:23], 3, s[6:7]
	v_lshl_add_u64 v[24:25], v[24:25], 3, s[6:7]
	v_lshl_add_u64 v[26:27], v[26:27], 3, s[6:7]
	v_lshl_add_u64 v[18:19], v[18:19], 3, s[6:7]
	s_waitcnt vmcnt(3)
	global_store_dwordx2 v[28:29], v[2:3], off
	global_store_dwordx2 v[28:29], v[4:5], off offset:2048
	s_waitcnt vmcnt(4)
	global_store_dwordx2 v[0:1], v[6:7], off
	global_store_dwordx2 v[20:21], v[8:9], off
	s_waitcnt vmcnt(5)
	global_store_dwordx2 v[22:23], v[10:11], off
	global_store_dwordx2 v[24:25], v[12:13], off
	;; [unrolled: 3-line block ×3, first 2 shown]
	s_endpgm
	.section	.rodata,"a",@progbits
	.p2align	6, 0x0
	.amdhsa_kernel _Z16warp_load_kernelILj256ELj8ELj64ELN6hipcub17WarpLoadAlgorithmE0EdEvPT3_S3_
		.amdhsa_group_segment_fixed_size 0
		.amdhsa_private_segment_fixed_size 0
		.amdhsa_kernarg_size 16
		.amdhsa_user_sgpr_count 2
		.amdhsa_user_sgpr_dispatch_ptr 0
		.amdhsa_user_sgpr_queue_ptr 0
		.amdhsa_user_sgpr_kernarg_segment_ptr 1
		.amdhsa_user_sgpr_dispatch_id 0
		.amdhsa_user_sgpr_kernarg_preload_length 0
		.amdhsa_user_sgpr_kernarg_preload_offset 0
		.amdhsa_user_sgpr_private_segment_size 0
		.amdhsa_uses_dynamic_stack 0
		.amdhsa_enable_private_segment 0
		.amdhsa_system_sgpr_workgroup_id_x 1
		.amdhsa_system_sgpr_workgroup_id_y 0
		.amdhsa_system_sgpr_workgroup_id_z 0
		.amdhsa_system_sgpr_workgroup_info 0
		.amdhsa_system_vgpr_workitem_id 0
		.amdhsa_next_free_vgpr 30
		.amdhsa_next_free_sgpr 8
		.amdhsa_accum_offset 32
		.amdhsa_reserve_vcc 0
		.amdhsa_float_round_mode_32 0
		.amdhsa_float_round_mode_16_64 0
		.amdhsa_float_denorm_mode_32 3
		.amdhsa_float_denorm_mode_16_64 3
		.amdhsa_dx10_clamp 1
		.amdhsa_ieee_mode 1
		.amdhsa_fp16_overflow 0
		.amdhsa_tg_split 0
		.amdhsa_exception_fp_ieee_invalid_op 0
		.amdhsa_exception_fp_denorm_src 0
		.amdhsa_exception_fp_ieee_div_zero 0
		.amdhsa_exception_fp_ieee_overflow 0
		.amdhsa_exception_fp_ieee_underflow 0
		.amdhsa_exception_fp_ieee_inexact 0
		.amdhsa_exception_int_div_zero 0
	.end_amdhsa_kernel
	.section	.text._Z16warp_load_kernelILj256ELj8ELj64ELN6hipcub17WarpLoadAlgorithmE0EdEvPT3_S3_,"axG",@progbits,_Z16warp_load_kernelILj256ELj8ELj64ELN6hipcub17WarpLoadAlgorithmE0EdEvPT3_S3_,comdat
.Lfunc_end60:
	.size	_Z16warp_load_kernelILj256ELj8ELj64ELN6hipcub17WarpLoadAlgorithmE0EdEvPT3_S3_, .Lfunc_end60-_Z16warp_load_kernelILj256ELj8ELj64ELN6hipcub17WarpLoadAlgorithmE0EdEvPT3_S3_
                                        ; -- End function
	.section	.AMDGPU.csdata,"",@progbits
; Kernel info:
; codeLenInByte = 324
; NumSgprs: 14
; NumVgprs: 30
; NumAgprs: 0
; TotalNumVgprs: 30
; ScratchSize: 0
; MemoryBound: 0
; FloatMode: 240
; IeeeMode: 1
; LDSByteSize: 0 bytes/workgroup (compile time only)
; SGPRBlocks: 1
; VGPRBlocks: 3
; NumSGPRsForWavesPerEU: 14
; NumVGPRsForWavesPerEU: 30
; AccumOffset: 32
; Occupancy: 8
; WaveLimiterHint : 1
; COMPUTE_PGM_RSRC2:SCRATCH_EN: 0
; COMPUTE_PGM_RSRC2:USER_SGPR: 2
; COMPUTE_PGM_RSRC2:TRAP_HANDLER: 0
; COMPUTE_PGM_RSRC2:TGID_X_EN: 1
; COMPUTE_PGM_RSRC2:TGID_Y_EN: 0
; COMPUTE_PGM_RSRC2:TGID_Z_EN: 0
; COMPUTE_PGM_RSRC2:TIDIG_COMP_CNT: 0
; COMPUTE_PGM_RSRC3_GFX90A:ACCUM_OFFSET: 7
; COMPUTE_PGM_RSRC3_GFX90A:TG_SPLIT: 0
	.section	.text._Z16warp_load_kernelILj256ELj8ELj64ELN6hipcub17WarpLoadAlgorithmE1EdEvPT3_S3_,"axG",@progbits,_Z16warp_load_kernelILj256ELj8ELj64ELN6hipcub17WarpLoadAlgorithmE1EdEvPT3_S3_,comdat
	.protected	_Z16warp_load_kernelILj256ELj8ELj64ELN6hipcub17WarpLoadAlgorithmE1EdEvPT3_S3_ ; -- Begin function _Z16warp_load_kernelILj256ELj8ELj64ELN6hipcub17WarpLoadAlgorithmE1EdEvPT3_S3_
	.globl	_Z16warp_load_kernelILj256ELj8ELj64ELN6hipcub17WarpLoadAlgorithmE1EdEvPT3_S3_
	.p2align	8
	.type	_Z16warp_load_kernelILj256ELj8ELj64ELN6hipcub17WarpLoadAlgorithmE1EdEvPT3_S3_,@function
_Z16warp_load_kernelILj256ELj8ELj64ELN6hipcub17WarpLoadAlgorithmE1EdEvPT3_S3_: ; @_Z16warp_load_kernelILj256ELj8ELj64ELN6hipcub17WarpLoadAlgorithmE1EdEvPT3_S3_
; %bb.0:
	s_load_dwordx4 s[4:7], s[0:1], 0x0
	v_lshlrev_b32_e32 v4, 3, v0
	v_mbcnt_lo_u32_b32 v1, -1, 0
	s_lshl_b32 s0, s2, 11
	v_and_b32_e32 v4, 0x600, v4
	s_waitcnt lgkmcnt(0)
	v_mov_b32_e32 v2, s4
	v_mov_b32_e32 v3, s5
	v_mbcnt_hi_u32_b32 v1, -1, v1
	v_or_b32_e32 v4, s0, v4
	v_mov_b32_e32 v5, 0
	v_lshl_add_u64 v[2:3], v[4:5], 3, v[2:3]
	v_lshlrev_b32_e32 v4, 3, v1
	v_lshlrev_b32_e32 v1, 6, v1
	v_lshl_add_u64 v[2:3], v[2:3], 0, v[4:5]
	v_and_b32_e32 v4, 0x1000, v1
	v_lshl_add_u64 v[2:3], v[2:3], 0, v[4:5]
	global_load_dwordx2 v[6:7], v[2:3], off
	global_load_dwordx2 v[8:9], v[2:3], off offset:512
	global_load_dwordx2 v[10:11], v[2:3], off offset:1024
	;; [unrolled: 1-line block ×7, first 2 shown]
	v_or_b32_e32 v4, s0, v0
	v_mov_b32_e32 v1, v5
	v_mov_b32_e32 v3, v5
	;; [unrolled: 1-line block ×5, first 2 shown]
	v_lshl_add_u64 v[28:29], v[4:5], 3, s[6:7]
	v_or_b32_e32 v0, 0x200, v4
	v_or_b32_e32 v2, 0x300, v4
	;; [unrolled: 1-line block ×6, first 2 shown]
	v_lshl_add_u64 v[0:1], v[0:1], 3, s[6:7]
	v_lshl_add_u64 v[2:3], v[2:3], 3, s[6:7]
	;; [unrolled: 1-line block ×6, first 2 shown]
	s_waitcnt vmcnt(7)
	global_store_dwordx2 v[28:29], v[6:7], off
	s_waitcnt vmcnt(7)
	global_store_dwordx2 v[28:29], v[8:9], off offset:2048
	s_waitcnt vmcnt(7)
	global_store_dwordx2 v[0:1], v[10:11], off
	s_waitcnt vmcnt(7)
	global_store_dwordx2 v[2:3], v[12:13], off
	;; [unrolled: 2-line block ×6, first 2 shown]
	s_endpgm
	.section	.rodata,"a",@progbits
	.p2align	6, 0x0
	.amdhsa_kernel _Z16warp_load_kernelILj256ELj8ELj64ELN6hipcub17WarpLoadAlgorithmE1EdEvPT3_S3_
		.amdhsa_group_segment_fixed_size 0
		.amdhsa_private_segment_fixed_size 0
		.amdhsa_kernarg_size 16
		.amdhsa_user_sgpr_count 2
		.amdhsa_user_sgpr_dispatch_ptr 0
		.amdhsa_user_sgpr_queue_ptr 0
		.amdhsa_user_sgpr_kernarg_segment_ptr 1
		.amdhsa_user_sgpr_dispatch_id 0
		.amdhsa_user_sgpr_kernarg_preload_length 0
		.amdhsa_user_sgpr_kernarg_preload_offset 0
		.amdhsa_user_sgpr_private_segment_size 0
		.amdhsa_uses_dynamic_stack 0
		.amdhsa_enable_private_segment 0
		.amdhsa_system_sgpr_workgroup_id_x 1
		.amdhsa_system_sgpr_workgroup_id_y 0
		.amdhsa_system_sgpr_workgroup_id_z 0
		.amdhsa_system_sgpr_workgroup_info 0
		.amdhsa_system_vgpr_workitem_id 0
		.amdhsa_next_free_vgpr 30
		.amdhsa_next_free_sgpr 8
		.amdhsa_accum_offset 32
		.amdhsa_reserve_vcc 0
		.amdhsa_float_round_mode_32 0
		.amdhsa_float_round_mode_16_64 0
		.amdhsa_float_denorm_mode_32 3
		.amdhsa_float_denorm_mode_16_64 3
		.amdhsa_dx10_clamp 1
		.amdhsa_ieee_mode 1
		.amdhsa_fp16_overflow 0
		.amdhsa_tg_split 0
		.amdhsa_exception_fp_ieee_invalid_op 0
		.amdhsa_exception_fp_denorm_src 0
		.amdhsa_exception_fp_ieee_div_zero 0
		.amdhsa_exception_fp_ieee_overflow 0
		.amdhsa_exception_fp_ieee_underflow 0
		.amdhsa_exception_fp_ieee_inexact 0
		.amdhsa_exception_int_div_zero 0
	.end_amdhsa_kernel
	.section	.text._Z16warp_load_kernelILj256ELj8ELj64ELN6hipcub17WarpLoadAlgorithmE1EdEvPT3_S3_,"axG",@progbits,_Z16warp_load_kernelILj256ELj8ELj64ELN6hipcub17WarpLoadAlgorithmE1EdEvPT3_S3_,comdat
.Lfunc_end61:
	.size	_Z16warp_load_kernelILj256ELj8ELj64ELN6hipcub17WarpLoadAlgorithmE1EdEvPT3_S3_, .Lfunc_end61-_Z16warp_load_kernelILj256ELj8ELj64ELN6hipcub17WarpLoadAlgorithmE1EdEvPT3_S3_
                                        ; -- End function
	.section	.AMDGPU.csdata,"",@progbits
; Kernel info:
; codeLenInByte = 392
; NumSgprs: 14
; NumVgprs: 30
; NumAgprs: 0
; TotalNumVgprs: 30
; ScratchSize: 0
; MemoryBound: 1
; FloatMode: 240
; IeeeMode: 1
; LDSByteSize: 0 bytes/workgroup (compile time only)
; SGPRBlocks: 1
; VGPRBlocks: 3
; NumSGPRsForWavesPerEU: 14
; NumVGPRsForWavesPerEU: 30
; AccumOffset: 32
; Occupancy: 8
; WaveLimiterHint : 1
; COMPUTE_PGM_RSRC2:SCRATCH_EN: 0
; COMPUTE_PGM_RSRC2:USER_SGPR: 2
; COMPUTE_PGM_RSRC2:TRAP_HANDLER: 0
; COMPUTE_PGM_RSRC2:TGID_X_EN: 1
; COMPUTE_PGM_RSRC2:TGID_Y_EN: 0
; COMPUTE_PGM_RSRC2:TGID_Z_EN: 0
; COMPUTE_PGM_RSRC2:TIDIG_COMP_CNT: 0
; COMPUTE_PGM_RSRC3_GFX90A:ACCUM_OFFSET: 7
; COMPUTE_PGM_RSRC3_GFX90A:TG_SPLIT: 0
	.section	.text._Z16warp_load_kernelILj256ELj8ELj64ELN6hipcub17WarpLoadAlgorithmE2EdEvPT3_S3_,"axG",@progbits,_Z16warp_load_kernelILj256ELj8ELj64ELN6hipcub17WarpLoadAlgorithmE2EdEvPT3_S3_,comdat
	.protected	_Z16warp_load_kernelILj256ELj8ELj64ELN6hipcub17WarpLoadAlgorithmE2EdEvPT3_S3_ ; -- Begin function _Z16warp_load_kernelILj256ELj8ELj64ELN6hipcub17WarpLoadAlgorithmE2EdEvPT3_S3_
	.globl	_Z16warp_load_kernelILj256ELj8ELj64ELN6hipcub17WarpLoadAlgorithmE2EdEvPT3_S3_
	.p2align	8
	.type	_Z16warp_load_kernelILj256ELj8ELj64ELN6hipcub17WarpLoadAlgorithmE2EdEvPT3_S3_,@function
_Z16warp_load_kernelILj256ELj8ELj64ELN6hipcub17WarpLoadAlgorithmE2EdEvPT3_S3_: ; @_Z16warp_load_kernelILj256ELj8ELj64ELN6hipcub17WarpLoadAlgorithmE2EdEvPT3_S3_
; %bb.0:
	s_load_dwordx4 s[4:7], s[0:1], 0x0
	v_lshlrev_b32_e32 v4, 3, v0
	v_mbcnt_lo_u32_b32 v1, -1, 0
	s_lshl_b32 s0, s2, 11
	v_and_b32_e32 v4, 0x600, v4
	s_waitcnt lgkmcnt(0)
	v_mov_b32_e32 v2, s4
	v_mov_b32_e32 v3, s5
	v_mbcnt_hi_u32_b32 v1, -1, v1
	v_or_b32_e32 v18, s0, v4
	v_mov_b32_e32 v19, 0
	v_lshl_add_u64 v[2:3], v[18:19], 3, v[2:3]
	v_lshlrev_b32_e32 v18, 6, v1
	v_lshl_add_u64 v[20:21], v[2:3], 0, v[18:19]
	global_load_dwordx4 v[2:5], v[20:21], off
	global_load_dwordx4 v[6:9], v[20:21], off offset:16
	global_load_dwordx4 v[10:13], v[20:21], off offset:32
	;; [unrolled: 1-line block ×3, first 2 shown]
	v_or_b32_e32 v18, s0, v0
	v_mov_b32_e32 v1, v19
	v_mov_b32_e32 v21, v19
	;; [unrolled: 1-line block ×5, first 2 shown]
	v_lshl_add_u64 v[28:29], v[18:19], 3, s[6:7]
	v_or_b32_e32 v0, 0x200, v18
	v_or_b32_e32 v20, 0x300, v18
	;; [unrolled: 1-line block ×6, first 2 shown]
	v_lshl_add_u64 v[0:1], v[0:1], 3, s[6:7]
	v_lshl_add_u64 v[20:21], v[20:21], 3, s[6:7]
	;; [unrolled: 1-line block ×6, first 2 shown]
	s_waitcnt vmcnt(3)
	global_store_dwordx2 v[28:29], v[2:3], off
	global_store_dwordx2 v[28:29], v[4:5], off offset:2048
	s_waitcnt vmcnt(4)
	global_store_dwordx2 v[0:1], v[6:7], off
	global_store_dwordx2 v[20:21], v[8:9], off
	s_waitcnt vmcnt(5)
	global_store_dwordx2 v[22:23], v[10:11], off
	global_store_dwordx2 v[24:25], v[12:13], off
	;; [unrolled: 3-line block ×3, first 2 shown]
	s_endpgm
	.section	.rodata,"a",@progbits
	.p2align	6, 0x0
	.amdhsa_kernel _Z16warp_load_kernelILj256ELj8ELj64ELN6hipcub17WarpLoadAlgorithmE2EdEvPT3_S3_
		.amdhsa_group_segment_fixed_size 0
		.amdhsa_private_segment_fixed_size 0
		.amdhsa_kernarg_size 16
		.amdhsa_user_sgpr_count 2
		.amdhsa_user_sgpr_dispatch_ptr 0
		.amdhsa_user_sgpr_queue_ptr 0
		.amdhsa_user_sgpr_kernarg_segment_ptr 1
		.amdhsa_user_sgpr_dispatch_id 0
		.amdhsa_user_sgpr_kernarg_preload_length 0
		.amdhsa_user_sgpr_kernarg_preload_offset 0
		.amdhsa_user_sgpr_private_segment_size 0
		.amdhsa_uses_dynamic_stack 0
		.amdhsa_enable_private_segment 0
		.amdhsa_system_sgpr_workgroup_id_x 1
		.amdhsa_system_sgpr_workgroup_id_y 0
		.amdhsa_system_sgpr_workgroup_id_z 0
		.amdhsa_system_sgpr_workgroup_info 0
		.amdhsa_system_vgpr_workitem_id 0
		.amdhsa_next_free_vgpr 30
		.amdhsa_next_free_sgpr 8
		.amdhsa_accum_offset 32
		.amdhsa_reserve_vcc 0
		.amdhsa_float_round_mode_32 0
		.amdhsa_float_round_mode_16_64 0
		.amdhsa_float_denorm_mode_32 3
		.amdhsa_float_denorm_mode_16_64 3
		.amdhsa_dx10_clamp 1
		.amdhsa_ieee_mode 1
		.amdhsa_fp16_overflow 0
		.amdhsa_tg_split 0
		.amdhsa_exception_fp_ieee_invalid_op 0
		.amdhsa_exception_fp_denorm_src 0
		.amdhsa_exception_fp_ieee_div_zero 0
		.amdhsa_exception_fp_ieee_overflow 0
		.amdhsa_exception_fp_ieee_underflow 0
		.amdhsa_exception_fp_ieee_inexact 0
		.amdhsa_exception_int_div_zero 0
	.end_amdhsa_kernel
	.section	.text._Z16warp_load_kernelILj256ELj8ELj64ELN6hipcub17WarpLoadAlgorithmE2EdEvPT3_S3_,"axG",@progbits,_Z16warp_load_kernelILj256ELj8ELj64ELN6hipcub17WarpLoadAlgorithmE2EdEvPT3_S3_,comdat
.Lfunc_end62:
	.size	_Z16warp_load_kernelILj256ELj8ELj64ELN6hipcub17WarpLoadAlgorithmE2EdEvPT3_S3_, .Lfunc_end62-_Z16warp_load_kernelILj256ELj8ELj64ELN6hipcub17WarpLoadAlgorithmE2EdEvPT3_S3_
                                        ; -- End function
	.section	.AMDGPU.csdata,"",@progbits
; Kernel info:
; codeLenInByte = 324
; NumSgprs: 14
; NumVgprs: 30
; NumAgprs: 0
; TotalNumVgprs: 30
; ScratchSize: 0
; MemoryBound: 0
; FloatMode: 240
; IeeeMode: 1
; LDSByteSize: 0 bytes/workgroup (compile time only)
; SGPRBlocks: 1
; VGPRBlocks: 3
; NumSGPRsForWavesPerEU: 14
; NumVGPRsForWavesPerEU: 30
; AccumOffset: 32
; Occupancy: 8
; WaveLimiterHint : 1
; COMPUTE_PGM_RSRC2:SCRATCH_EN: 0
; COMPUTE_PGM_RSRC2:USER_SGPR: 2
; COMPUTE_PGM_RSRC2:TRAP_HANDLER: 0
; COMPUTE_PGM_RSRC2:TGID_X_EN: 1
; COMPUTE_PGM_RSRC2:TGID_Y_EN: 0
; COMPUTE_PGM_RSRC2:TGID_Z_EN: 0
; COMPUTE_PGM_RSRC2:TIDIG_COMP_CNT: 0
; COMPUTE_PGM_RSRC3_GFX90A:ACCUM_OFFSET: 7
; COMPUTE_PGM_RSRC3_GFX90A:TG_SPLIT: 0
	.section	.text._Z16warp_load_kernelILj256ELj8ELj64ELN6hipcub17WarpLoadAlgorithmE3EdEvPT3_S3_,"axG",@progbits,_Z16warp_load_kernelILj256ELj8ELj64ELN6hipcub17WarpLoadAlgorithmE3EdEvPT3_S3_,comdat
	.protected	_Z16warp_load_kernelILj256ELj8ELj64ELN6hipcub17WarpLoadAlgorithmE3EdEvPT3_S3_ ; -- Begin function _Z16warp_load_kernelILj256ELj8ELj64ELN6hipcub17WarpLoadAlgorithmE3EdEvPT3_S3_
	.globl	_Z16warp_load_kernelILj256ELj8ELj64ELN6hipcub17WarpLoadAlgorithmE3EdEvPT3_S3_
	.p2align	8
	.type	_Z16warp_load_kernelILj256ELj8ELj64ELN6hipcub17WarpLoadAlgorithmE3EdEvPT3_S3_,@function
_Z16warp_load_kernelILj256ELj8ELj64ELN6hipcub17WarpLoadAlgorithmE3EdEvPT3_S3_: ; @_Z16warp_load_kernelILj256ELj8ELj64ELN6hipcub17WarpLoadAlgorithmE3EdEvPT3_S3_
; %bb.0:
	s_load_dwordx4 s[4:7], s[0:1], 0x0
	v_lshrrev_b32_e32 v22, 6, v0
	v_mbcnt_lo_u32_b32 v1, -1, 0
	s_lshl_b32 s0, s2, 11
	v_mbcnt_hi_u32_b32 v1, -1, v1
	s_waitcnt lgkmcnt(0)
	v_mov_b32_e32 v2, s4
	v_mov_b32_e32 v3, s5
	v_lshl_or_b32 v4, v22, 9, s0
	v_mov_b32_e32 v5, 0
	v_lshl_add_u64 v[2:3], v[4:5], 3, v[2:3]
	v_lshlrev_b32_e32 v4, 3, v1
	v_lshlrev_b32_e32 v24, 6, v1
	v_lshl_add_u64 v[2:3], v[2:3], 0, v[4:5]
	v_and_b32_e32 v6, 0x1000, v24
	v_mov_b32_e32 v7, v5
	v_lshl_add_u64 v[2:3], v[2:3], 0, v[6:7]
	global_load_dwordx2 v[6:7], v[2:3], off
	global_load_dwordx2 v[8:9], v[2:3], off offset:512
	global_load_dwordx2 v[10:11], v[2:3], off offset:1024
	;; [unrolled: 1-line block ×7, first 2 shown]
	v_lshlrev_b32_e32 v2, 12, v22
	v_or_b32_e32 v35, v2, v4
	v_or_b32_e32 v4, s0, v0
	v_mov_b32_e32 v1, v5
	v_mov_b32_e32 v3, v5
	v_add_u32_e32 v34, v2, v24
	v_lshl_add_u64 v[28:29], v[4:5], 3, s[6:7]
	v_or_b32_e32 v0, 0x200, v4
	v_or_b32_e32 v2, 0x300, v4
	v_or_b32_e32 v22, 0x400, v4
	v_or_b32_e32 v24, 0x500, v4
	v_or_b32_e32 v26, 0x600, v4
	v_or_b32_e32 v4, 0x700, v4
	v_mov_b32_e32 v23, v5
	v_mov_b32_e32 v25, v5
	;; [unrolled: 1-line block ×3, first 2 shown]
	v_lshl_add_u64 v[30:31], v[0:1], 3, s[6:7]
	v_lshl_add_u64 v[32:33], v[2:3], 3, s[6:7]
	;; [unrolled: 1-line block ×5, first 2 shown]
	s_waitcnt vmcnt(6)
	ds_write2st64_b64 v35, v[6:7], v[8:9] offset1:1
	s_waitcnt vmcnt(4)
	ds_write2st64_b64 v35, v[10:11], v[12:13] offset0:2 offset1:3
	s_waitcnt vmcnt(2)
	ds_write2st64_b64 v35, v[14:15], v[16:17] offset0:4 offset1:5
	;; [unrolled: 2-line block ×3, first 2 shown]
	; wave barrier
	ds_read_b128 v[0:3], v34
	v_lshl_add_u64 v[16:17], v[4:5], 3, s[6:7]
	ds_read_b128 v[4:7], v34 offset:16
	ds_read_b128 v[8:11], v34 offset:32
	;; [unrolled: 1-line block ×3, first 2 shown]
	s_waitcnt lgkmcnt(3)
	global_store_dwordx2 v[28:29], v[0:1], off
	global_store_dwordx2 v[28:29], v[2:3], off offset:2048
	s_waitcnt lgkmcnt(2)
	global_store_dwordx2 v[30:31], v[4:5], off
	global_store_dwordx2 v[32:33], v[6:7], off
	s_waitcnt lgkmcnt(1)
	global_store_dwordx2 v[22:23], v[8:9], off
	global_store_dwordx2 v[24:25], v[10:11], off
	;; [unrolled: 3-line block ×3, first 2 shown]
	s_endpgm
	.section	.rodata,"a",@progbits
	.p2align	6, 0x0
	.amdhsa_kernel _Z16warp_load_kernelILj256ELj8ELj64ELN6hipcub17WarpLoadAlgorithmE3EdEvPT3_S3_
		.amdhsa_group_segment_fixed_size 16384
		.amdhsa_private_segment_fixed_size 0
		.amdhsa_kernarg_size 16
		.amdhsa_user_sgpr_count 2
		.amdhsa_user_sgpr_dispatch_ptr 0
		.amdhsa_user_sgpr_queue_ptr 0
		.amdhsa_user_sgpr_kernarg_segment_ptr 1
		.amdhsa_user_sgpr_dispatch_id 0
		.amdhsa_user_sgpr_kernarg_preload_length 0
		.amdhsa_user_sgpr_kernarg_preload_offset 0
		.amdhsa_user_sgpr_private_segment_size 0
		.amdhsa_uses_dynamic_stack 0
		.amdhsa_enable_private_segment 0
		.amdhsa_system_sgpr_workgroup_id_x 1
		.amdhsa_system_sgpr_workgroup_id_y 0
		.amdhsa_system_sgpr_workgroup_id_z 0
		.amdhsa_system_sgpr_workgroup_info 0
		.amdhsa_system_vgpr_workitem_id 0
		.amdhsa_next_free_vgpr 36
		.amdhsa_next_free_sgpr 8
		.amdhsa_accum_offset 36
		.amdhsa_reserve_vcc 0
		.amdhsa_float_round_mode_32 0
		.amdhsa_float_round_mode_16_64 0
		.amdhsa_float_denorm_mode_32 3
		.amdhsa_float_denorm_mode_16_64 3
		.amdhsa_dx10_clamp 1
		.amdhsa_ieee_mode 1
		.amdhsa_fp16_overflow 0
		.amdhsa_tg_split 0
		.amdhsa_exception_fp_ieee_invalid_op 0
		.amdhsa_exception_fp_denorm_src 0
		.amdhsa_exception_fp_ieee_div_zero 0
		.amdhsa_exception_fp_ieee_overflow 0
		.amdhsa_exception_fp_ieee_underflow 0
		.amdhsa_exception_fp_ieee_inexact 0
		.amdhsa_exception_int_div_zero 0
	.end_amdhsa_kernel
	.section	.text._Z16warp_load_kernelILj256ELj8ELj64ELN6hipcub17WarpLoadAlgorithmE3EdEvPT3_S3_,"axG",@progbits,_Z16warp_load_kernelILj256ELj8ELj64ELN6hipcub17WarpLoadAlgorithmE3EdEvPT3_S3_,comdat
.Lfunc_end63:
	.size	_Z16warp_load_kernelILj256ELj8ELj64ELN6hipcub17WarpLoadAlgorithmE3EdEvPT3_S3_, .Lfunc_end63-_Z16warp_load_kernelILj256ELj8ELj64ELN6hipcub17WarpLoadAlgorithmE3EdEvPT3_S3_
                                        ; -- End function
	.section	.AMDGPU.csdata,"",@progbits
; Kernel info:
; codeLenInByte = 468
; NumSgprs: 14
; NumVgprs: 36
; NumAgprs: 0
; TotalNumVgprs: 36
; ScratchSize: 0
; MemoryBound: 1
; FloatMode: 240
; IeeeMode: 1
; LDSByteSize: 16384 bytes/workgroup (compile time only)
; SGPRBlocks: 1
; VGPRBlocks: 4
; NumSGPRsForWavesPerEU: 14
; NumVGPRsForWavesPerEU: 36
; AccumOffset: 36
; Occupancy: 4
; WaveLimiterHint : 1
; COMPUTE_PGM_RSRC2:SCRATCH_EN: 0
; COMPUTE_PGM_RSRC2:USER_SGPR: 2
; COMPUTE_PGM_RSRC2:TRAP_HANDLER: 0
; COMPUTE_PGM_RSRC2:TGID_X_EN: 1
; COMPUTE_PGM_RSRC2:TGID_Y_EN: 0
; COMPUTE_PGM_RSRC2:TGID_Z_EN: 0
; COMPUTE_PGM_RSRC2:TIDIG_COMP_CNT: 0
; COMPUTE_PGM_RSRC3_GFX90A:ACCUM_OFFSET: 8
; COMPUTE_PGM_RSRC3_GFX90A:TG_SPLIT: 0
	.section	.text._Z16warp_load_kernelILj256ELj16ELj64ELN6hipcub17WarpLoadAlgorithmE0EdEvPT3_S3_,"axG",@progbits,_Z16warp_load_kernelILj256ELj16ELj64ELN6hipcub17WarpLoadAlgorithmE0EdEvPT3_S3_,comdat
	.protected	_Z16warp_load_kernelILj256ELj16ELj64ELN6hipcub17WarpLoadAlgorithmE0EdEvPT3_S3_ ; -- Begin function _Z16warp_load_kernelILj256ELj16ELj64ELN6hipcub17WarpLoadAlgorithmE0EdEvPT3_S3_
	.globl	_Z16warp_load_kernelILj256ELj16ELj64ELN6hipcub17WarpLoadAlgorithmE0EdEvPT3_S3_
	.p2align	8
	.type	_Z16warp_load_kernelILj256ELj16ELj64ELN6hipcub17WarpLoadAlgorithmE0EdEvPT3_S3_,@function
_Z16warp_load_kernelILj256ELj16ELj64ELN6hipcub17WarpLoadAlgorithmE0EdEvPT3_S3_: ; @_Z16warp_load_kernelILj256ELj16ELj64ELN6hipcub17WarpLoadAlgorithmE0EdEvPT3_S3_
; %bb.0:
	s_load_dwordx4 s[4:7], s[0:1], 0x0
	v_lshlrev_b32_e32 v4, 4, v0
	v_mbcnt_lo_u32_b32 v1, -1, 0
	s_lshl_b32 s0, s2, 12
	v_and_b32_e32 v4, 0xc00, v4
	s_waitcnt lgkmcnt(0)
	v_mov_b32_e32 v2, s4
	v_mov_b32_e32 v3, s5
	v_mbcnt_hi_u32_b32 v1, -1, v1
	v_or_b32_e32 v34, s0, v4
	v_mov_b32_e32 v35, 0
	v_lshl_add_u64 v[2:3], v[34:35], 3, v[2:3]
	v_lshlrev_b32_e32 v34, 7, v1
	v_lshl_add_u64 v[36:37], v[2:3], 0, v[34:35]
	global_load_dwordx4 v[2:5], v[36:37], off
	global_load_dwordx4 v[6:9], v[36:37], off offset:16
	global_load_dwordx4 v[10:13], v[36:37], off offset:32
	;; [unrolled: 1-line block ×7, first 2 shown]
	v_or_b32_e32 v34, s0, v0
	v_mov_b32_e32 v1, v35
	v_mov_b32_e32 v37, v35
	;; [unrolled: 1-line block ×13, first 2 shown]
	v_lshl_add_u64 v[60:61], v[34:35], 3, s[6:7]
	v_or_b32_e32 v0, 0x200, v34
	v_or_b32_e32 v36, 0x300, v34
	;; [unrolled: 1-line block ×14, first 2 shown]
	v_lshl_add_u64 v[0:1], v[0:1], 3, s[6:7]
	v_lshl_add_u64 v[36:37], v[36:37], 3, s[6:7]
	;; [unrolled: 1-line block ×14, first 2 shown]
	s_waitcnt vmcnt(7)
	global_store_dwordx2 v[60:61], v[2:3], off
	global_store_dwordx2 v[60:61], v[4:5], off offset:2048
	s_waitcnt vmcnt(8)
	global_store_dwordx2 v[0:1], v[6:7], off
	global_store_dwordx2 v[36:37], v[8:9], off
	s_waitcnt vmcnt(9)
	global_store_dwordx2 v[38:39], v[10:11], off
	global_store_dwordx2 v[40:41], v[12:13], off
	;; [unrolled: 3-line block ×7, first 2 shown]
	s_endpgm
	.section	.rodata,"a",@progbits
	.p2align	6, 0x0
	.amdhsa_kernel _Z16warp_load_kernelILj256ELj16ELj64ELN6hipcub17WarpLoadAlgorithmE0EdEvPT3_S3_
		.amdhsa_group_segment_fixed_size 0
		.amdhsa_private_segment_fixed_size 0
		.amdhsa_kernarg_size 16
		.amdhsa_user_sgpr_count 2
		.amdhsa_user_sgpr_dispatch_ptr 0
		.amdhsa_user_sgpr_queue_ptr 0
		.amdhsa_user_sgpr_kernarg_segment_ptr 1
		.amdhsa_user_sgpr_dispatch_id 0
		.amdhsa_user_sgpr_kernarg_preload_length 0
		.amdhsa_user_sgpr_kernarg_preload_offset 0
		.amdhsa_user_sgpr_private_segment_size 0
		.amdhsa_uses_dynamic_stack 0
		.amdhsa_enable_private_segment 0
		.amdhsa_system_sgpr_workgroup_id_x 1
		.amdhsa_system_sgpr_workgroup_id_y 0
		.amdhsa_system_sgpr_workgroup_id_z 0
		.amdhsa_system_sgpr_workgroup_info 0
		.amdhsa_system_vgpr_workitem_id 0
		.amdhsa_next_free_vgpr 62
		.amdhsa_next_free_sgpr 8
		.amdhsa_accum_offset 64
		.amdhsa_reserve_vcc 0
		.amdhsa_float_round_mode_32 0
		.amdhsa_float_round_mode_16_64 0
		.amdhsa_float_denorm_mode_32 3
		.amdhsa_float_denorm_mode_16_64 3
		.amdhsa_dx10_clamp 1
		.amdhsa_ieee_mode 1
		.amdhsa_fp16_overflow 0
		.amdhsa_tg_split 0
		.amdhsa_exception_fp_ieee_invalid_op 0
		.amdhsa_exception_fp_denorm_src 0
		.amdhsa_exception_fp_ieee_div_zero 0
		.amdhsa_exception_fp_ieee_overflow 0
		.amdhsa_exception_fp_ieee_underflow 0
		.amdhsa_exception_fp_ieee_inexact 0
		.amdhsa_exception_int_div_zero 0
	.end_amdhsa_kernel
	.section	.text._Z16warp_load_kernelILj256ELj16ELj64ELN6hipcub17WarpLoadAlgorithmE0EdEvPT3_S3_,"axG",@progbits,_Z16warp_load_kernelILj256ELj16ELj64ELN6hipcub17WarpLoadAlgorithmE0EdEvPT3_S3_,comdat
.Lfunc_end64:
	.size	_Z16warp_load_kernelILj256ELj16ELj64ELN6hipcub17WarpLoadAlgorithmE0EdEvPT3_S3_, .Lfunc_end64-_Z16warp_load_kernelILj256ELj16ELj64ELN6hipcub17WarpLoadAlgorithmE0EdEvPT3_S3_
                                        ; -- End function
	.section	.AMDGPU.csdata,"",@progbits
; Kernel info:
; codeLenInByte = 596
; NumSgprs: 14
; NumVgprs: 62
; NumAgprs: 0
; TotalNumVgprs: 62
; ScratchSize: 0
; MemoryBound: 1
; FloatMode: 240
; IeeeMode: 1
; LDSByteSize: 0 bytes/workgroup (compile time only)
; SGPRBlocks: 1
; VGPRBlocks: 7
; NumSGPRsForWavesPerEU: 14
; NumVGPRsForWavesPerEU: 62
; AccumOffset: 64
; Occupancy: 8
; WaveLimiterHint : 1
; COMPUTE_PGM_RSRC2:SCRATCH_EN: 0
; COMPUTE_PGM_RSRC2:USER_SGPR: 2
; COMPUTE_PGM_RSRC2:TRAP_HANDLER: 0
; COMPUTE_PGM_RSRC2:TGID_X_EN: 1
; COMPUTE_PGM_RSRC2:TGID_Y_EN: 0
; COMPUTE_PGM_RSRC2:TGID_Z_EN: 0
; COMPUTE_PGM_RSRC2:TIDIG_COMP_CNT: 0
; COMPUTE_PGM_RSRC3_GFX90A:ACCUM_OFFSET: 15
; COMPUTE_PGM_RSRC3_GFX90A:TG_SPLIT: 0
	.section	.text._Z16warp_load_kernelILj256ELj16ELj64ELN6hipcub17WarpLoadAlgorithmE1EdEvPT3_S3_,"axG",@progbits,_Z16warp_load_kernelILj256ELj16ELj64ELN6hipcub17WarpLoadAlgorithmE1EdEvPT3_S3_,comdat
	.protected	_Z16warp_load_kernelILj256ELj16ELj64ELN6hipcub17WarpLoadAlgorithmE1EdEvPT3_S3_ ; -- Begin function _Z16warp_load_kernelILj256ELj16ELj64ELN6hipcub17WarpLoadAlgorithmE1EdEvPT3_S3_
	.globl	_Z16warp_load_kernelILj256ELj16ELj64ELN6hipcub17WarpLoadAlgorithmE1EdEvPT3_S3_
	.p2align	8
	.type	_Z16warp_load_kernelILj256ELj16ELj64ELN6hipcub17WarpLoadAlgorithmE1EdEvPT3_S3_,@function
_Z16warp_load_kernelILj256ELj16ELj64ELN6hipcub17WarpLoadAlgorithmE1EdEvPT3_S3_: ; @_Z16warp_load_kernelILj256ELj16ELj64ELN6hipcub17WarpLoadAlgorithmE1EdEvPT3_S3_
; %bb.0:
	s_load_dwordx4 s[4:7], s[0:1], 0x0
	v_lshlrev_b32_e32 v4, 4, v0
	v_mbcnt_lo_u32_b32 v1, -1, 0
	s_lshl_b32 s0, s2, 12
	v_and_b32_e32 v4, 0xc00, v4
	s_waitcnt lgkmcnt(0)
	v_mov_b32_e32 v2, s4
	v_mov_b32_e32 v3, s5
	v_mbcnt_hi_u32_b32 v1, -1, v1
	v_or_b32_e32 v4, s0, v4
	v_mov_b32_e32 v5, 0
	v_lshl_add_u64 v[2:3], v[4:5], 3, v[2:3]
	v_lshlrev_b32_e32 v4, 3, v1
	v_lshlrev_b32_e32 v1, 7, v1
	v_lshl_add_u64 v[2:3], v[2:3], 0, v[4:5]
	v_and_b32_e32 v4, 0x2000, v1
	v_lshl_add_u64 v[2:3], v[2:3], 0, v[4:5]
	s_movk_i32 s1, 0x1000
	global_load_dwordx2 v[6:7], v[2:3], off
	global_load_dwordx2 v[8:9], v[2:3], off offset:512
	global_load_dwordx2 v[10:11], v[2:3], off offset:1024
	;; [unrolled: 1-line block ×7, first 2 shown]
	v_add_co_u32_e32 v2, vcc, s1, v2
	v_or_b32_e32 v4, s0, v0
	s_nop 0
	v_addc_co_u32_e32 v3, vcc, 0, v3, vcc
	global_load_dwordx2 v[22:23], v[2:3], off
	global_load_dwordx2 v[24:25], v[2:3], off offset:512
	global_load_dwordx2 v[26:27], v[2:3], off offset:1024
	global_load_dwordx2 v[28:29], v[2:3], off offset:1536
	global_load_dwordx2 v[30:31], v[2:3], off offset:2048
	global_load_dwordx2 v[32:33], v[2:3], off offset:2560
	global_load_dwordx2 v[34:35], v[2:3], off offset:3072
	global_load_dwordx2 v[36:37], v[2:3], off offset:3584
	v_mov_b32_e32 v1, v5
	v_or_b32_e32 v0, 0x200, v4
	v_mov_b32_e32 v3, v5
	v_mov_b32_e32 v39, v5
	;; [unrolled: 1-line block ×11, first 2 shown]
	v_lshl_add_u64 v[58:59], v[4:5], 3, s[6:7]
	v_or_b32_e32 v2, 0x300, v4
	v_or_b32_e32 v38, 0x400, v4
	v_or_b32_e32 v40, 0x500, v4
	v_or_b32_e32 v42, 0x600, v4
	v_or_b32_e32 v44, 0x700, v4
	v_or_b32_e32 v46, 0x800, v4
	v_or_b32_e32 v48, 0x900, v4
	v_or_b32_e32 v50, 0xa00, v4
	v_or_b32_e32 v52, 0xb00, v4
	v_or_b32_e32 v54, 0xc00, v4
	v_or_b32_e32 v56, 0xd00, v4
	v_lshl_add_u64 v[0:1], v[0:1], 3, s[6:7]
	v_lshl_add_u64 v[2:3], v[2:3], 3, s[6:7]
	;; [unrolled: 1-line block ×12, first 2 shown]
	s_waitcnt vmcnt(15)
	global_store_dwordx2 v[58:59], v[6:7], off
	s_waitcnt vmcnt(15)
	global_store_dwordx2 v[58:59], v[8:9], off offset:2048
	s_waitcnt vmcnt(15)
	global_store_dwordx2 v[0:1], v[10:11], off
	s_waitcnt vmcnt(15)
	global_store_dwordx2 v[2:3], v[12:13], off
	;; [unrolled: 2-line block ×12, first 2 shown]
	v_or_b32_e32 v0, 0xe00, v4
	v_mov_b32_e32 v1, v5
	v_lshl_add_u64 v[0:1], v[0:1], 3, s[6:7]
	v_or_b32_e32 v4, 0xf00, v4
	s_waitcnt vmcnt(15)
	global_store_dwordx2 v[0:1], v[34:35], off
	v_lshl_add_u64 v[0:1], v[4:5], 3, s[6:7]
	s_waitcnt vmcnt(15)
	global_store_dwordx2 v[0:1], v[36:37], off
	s_endpgm
	.section	.rodata,"a",@progbits
	.p2align	6, 0x0
	.amdhsa_kernel _Z16warp_load_kernelILj256ELj16ELj64ELN6hipcub17WarpLoadAlgorithmE1EdEvPT3_S3_
		.amdhsa_group_segment_fixed_size 0
		.amdhsa_private_segment_fixed_size 0
		.amdhsa_kernarg_size 16
		.amdhsa_user_sgpr_count 2
		.amdhsa_user_sgpr_dispatch_ptr 0
		.amdhsa_user_sgpr_queue_ptr 0
		.amdhsa_user_sgpr_kernarg_segment_ptr 1
		.amdhsa_user_sgpr_dispatch_id 0
		.amdhsa_user_sgpr_kernarg_preload_length 0
		.amdhsa_user_sgpr_kernarg_preload_offset 0
		.amdhsa_user_sgpr_private_segment_size 0
		.amdhsa_uses_dynamic_stack 0
		.amdhsa_enable_private_segment 0
		.amdhsa_system_sgpr_workgroup_id_x 1
		.amdhsa_system_sgpr_workgroup_id_y 0
		.amdhsa_system_sgpr_workgroup_id_z 0
		.amdhsa_system_sgpr_workgroup_info 0
		.amdhsa_system_vgpr_workitem_id 0
		.amdhsa_next_free_vgpr 60
		.amdhsa_next_free_sgpr 8
		.amdhsa_accum_offset 60
		.amdhsa_reserve_vcc 1
		.amdhsa_float_round_mode_32 0
		.amdhsa_float_round_mode_16_64 0
		.amdhsa_float_denorm_mode_32 3
		.amdhsa_float_denorm_mode_16_64 3
		.amdhsa_dx10_clamp 1
		.amdhsa_ieee_mode 1
		.amdhsa_fp16_overflow 0
		.amdhsa_tg_split 0
		.amdhsa_exception_fp_ieee_invalid_op 0
		.amdhsa_exception_fp_denorm_src 0
		.amdhsa_exception_fp_ieee_div_zero 0
		.amdhsa_exception_fp_ieee_overflow 0
		.amdhsa_exception_fp_ieee_underflow 0
		.amdhsa_exception_fp_ieee_inexact 0
		.amdhsa_exception_int_div_zero 0
	.end_amdhsa_kernel
	.section	.text._Z16warp_load_kernelILj256ELj16ELj64ELN6hipcub17WarpLoadAlgorithmE1EdEvPT3_S3_,"axG",@progbits,_Z16warp_load_kernelILj256ELj16ELj64ELN6hipcub17WarpLoadAlgorithmE1EdEvPT3_S3_,comdat
.Lfunc_end65:
	.size	_Z16warp_load_kernelILj256ELj16ELj64ELN6hipcub17WarpLoadAlgorithmE1EdEvPT3_S3_, .Lfunc_end65-_Z16warp_load_kernelILj256ELj16ELj64ELN6hipcub17WarpLoadAlgorithmE1EdEvPT3_S3_
                                        ; -- End function
	.section	.AMDGPU.csdata,"",@progbits
; Kernel info:
; codeLenInByte = 728
; NumSgprs: 14
; NumVgprs: 60
; NumAgprs: 0
; TotalNumVgprs: 60
; ScratchSize: 0
; MemoryBound: 1
; FloatMode: 240
; IeeeMode: 1
; LDSByteSize: 0 bytes/workgroup (compile time only)
; SGPRBlocks: 1
; VGPRBlocks: 7
; NumSGPRsForWavesPerEU: 14
; NumVGPRsForWavesPerEU: 60
; AccumOffset: 60
; Occupancy: 8
; WaveLimiterHint : 1
; COMPUTE_PGM_RSRC2:SCRATCH_EN: 0
; COMPUTE_PGM_RSRC2:USER_SGPR: 2
; COMPUTE_PGM_RSRC2:TRAP_HANDLER: 0
; COMPUTE_PGM_RSRC2:TGID_X_EN: 1
; COMPUTE_PGM_RSRC2:TGID_Y_EN: 0
; COMPUTE_PGM_RSRC2:TGID_Z_EN: 0
; COMPUTE_PGM_RSRC2:TIDIG_COMP_CNT: 0
; COMPUTE_PGM_RSRC3_GFX90A:ACCUM_OFFSET: 14
; COMPUTE_PGM_RSRC3_GFX90A:TG_SPLIT: 0
	.section	.text._Z16warp_load_kernelILj256ELj16ELj64ELN6hipcub17WarpLoadAlgorithmE2EdEvPT3_S3_,"axG",@progbits,_Z16warp_load_kernelILj256ELj16ELj64ELN6hipcub17WarpLoadAlgorithmE2EdEvPT3_S3_,comdat
	.protected	_Z16warp_load_kernelILj256ELj16ELj64ELN6hipcub17WarpLoadAlgorithmE2EdEvPT3_S3_ ; -- Begin function _Z16warp_load_kernelILj256ELj16ELj64ELN6hipcub17WarpLoadAlgorithmE2EdEvPT3_S3_
	.globl	_Z16warp_load_kernelILj256ELj16ELj64ELN6hipcub17WarpLoadAlgorithmE2EdEvPT3_S3_
	.p2align	8
	.type	_Z16warp_load_kernelILj256ELj16ELj64ELN6hipcub17WarpLoadAlgorithmE2EdEvPT3_S3_,@function
_Z16warp_load_kernelILj256ELj16ELj64ELN6hipcub17WarpLoadAlgorithmE2EdEvPT3_S3_: ; @_Z16warp_load_kernelILj256ELj16ELj64ELN6hipcub17WarpLoadAlgorithmE2EdEvPT3_S3_
; %bb.0:
	s_load_dwordx4 s[4:7], s[0:1], 0x0
	v_lshlrev_b32_e32 v4, 4, v0
	v_mbcnt_lo_u32_b32 v1, -1, 0
	s_lshl_b32 s0, s2, 12
	v_and_b32_e32 v4, 0xc00, v4
	s_waitcnt lgkmcnt(0)
	v_mov_b32_e32 v2, s4
	v_mov_b32_e32 v3, s5
	v_mbcnt_hi_u32_b32 v1, -1, v1
	v_or_b32_e32 v34, s0, v4
	v_mov_b32_e32 v35, 0
	v_lshl_add_u64 v[2:3], v[34:35], 3, v[2:3]
	v_lshlrev_b32_e32 v34, 7, v1
	v_lshl_add_u64 v[36:37], v[2:3], 0, v[34:35]
	global_load_dwordx4 v[2:5], v[36:37], off
	global_load_dwordx4 v[6:9], v[36:37], off offset:16
	global_load_dwordx4 v[10:13], v[36:37], off offset:32
	;; [unrolled: 1-line block ×7, first 2 shown]
	v_or_b32_e32 v34, s0, v0
	v_mov_b32_e32 v1, v35
	v_mov_b32_e32 v37, v35
	;; [unrolled: 1-line block ×13, first 2 shown]
	v_lshl_add_u64 v[60:61], v[34:35], 3, s[6:7]
	v_or_b32_e32 v0, 0x200, v34
	v_or_b32_e32 v36, 0x300, v34
	;; [unrolled: 1-line block ×14, first 2 shown]
	v_lshl_add_u64 v[0:1], v[0:1], 3, s[6:7]
	v_lshl_add_u64 v[36:37], v[36:37], 3, s[6:7]
	;; [unrolled: 1-line block ×14, first 2 shown]
	s_waitcnt vmcnt(7)
	global_store_dwordx2 v[60:61], v[2:3], off
	global_store_dwordx2 v[60:61], v[4:5], off offset:2048
	s_waitcnt vmcnt(8)
	global_store_dwordx2 v[0:1], v[6:7], off
	global_store_dwordx2 v[36:37], v[8:9], off
	s_waitcnt vmcnt(9)
	global_store_dwordx2 v[38:39], v[10:11], off
	global_store_dwordx2 v[40:41], v[12:13], off
	;; [unrolled: 3-line block ×7, first 2 shown]
	s_endpgm
	.section	.rodata,"a",@progbits
	.p2align	6, 0x0
	.amdhsa_kernel _Z16warp_load_kernelILj256ELj16ELj64ELN6hipcub17WarpLoadAlgorithmE2EdEvPT3_S3_
		.amdhsa_group_segment_fixed_size 0
		.amdhsa_private_segment_fixed_size 0
		.amdhsa_kernarg_size 16
		.amdhsa_user_sgpr_count 2
		.amdhsa_user_sgpr_dispatch_ptr 0
		.amdhsa_user_sgpr_queue_ptr 0
		.amdhsa_user_sgpr_kernarg_segment_ptr 1
		.amdhsa_user_sgpr_dispatch_id 0
		.amdhsa_user_sgpr_kernarg_preload_length 0
		.amdhsa_user_sgpr_kernarg_preload_offset 0
		.amdhsa_user_sgpr_private_segment_size 0
		.amdhsa_uses_dynamic_stack 0
		.amdhsa_enable_private_segment 0
		.amdhsa_system_sgpr_workgroup_id_x 1
		.amdhsa_system_sgpr_workgroup_id_y 0
		.amdhsa_system_sgpr_workgroup_id_z 0
		.amdhsa_system_sgpr_workgroup_info 0
		.amdhsa_system_vgpr_workitem_id 0
		.amdhsa_next_free_vgpr 62
		.amdhsa_next_free_sgpr 8
		.amdhsa_accum_offset 64
		.amdhsa_reserve_vcc 0
		.amdhsa_float_round_mode_32 0
		.amdhsa_float_round_mode_16_64 0
		.amdhsa_float_denorm_mode_32 3
		.amdhsa_float_denorm_mode_16_64 3
		.amdhsa_dx10_clamp 1
		.amdhsa_ieee_mode 1
		.amdhsa_fp16_overflow 0
		.amdhsa_tg_split 0
		.amdhsa_exception_fp_ieee_invalid_op 0
		.amdhsa_exception_fp_denorm_src 0
		.amdhsa_exception_fp_ieee_div_zero 0
		.amdhsa_exception_fp_ieee_overflow 0
		.amdhsa_exception_fp_ieee_underflow 0
		.amdhsa_exception_fp_ieee_inexact 0
		.amdhsa_exception_int_div_zero 0
	.end_amdhsa_kernel
	.section	.text._Z16warp_load_kernelILj256ELj16ELj64ELN6hipcub17WarpLoadAlgorithmE2EdEvPT3_S3_,"axG",@progbits,_Z16warp_load_kernelILj256ELj16ELj64ELN6hipcub17WarpLoadAlgorithmE2EdEvPT3_S3_,comdat
.Lfunc_end66:
	.size	_Z16warp_load_kernelILj256ELj16ELj64ELN6hipcub17WarpLoadAlgorithmE2EdEvPT3_S3_, .Lfunc_end66-_Z16warp_load_kernelILj256ELj16ELj64ELN6hipcub17WarpLoadAlgorithmE2EdEvPT3_S3_
                                        ; -- End function
	.section	.AMDGPU.csdata,"",@progbits
; Kernel info:
; codeLenInByte = 596
; NumSgprs: 14
; NumVgprs: 62
; NumAgprs: 0
; TotalNumVgprs: 62
; ScratchSize: 0
; MemoryBound: 1
; FloatMode: 240
; IeeeMode: 1
; LDSByteSize: 0 bytes/workgroup (compile time only)
; SGPRBlocks: 1
; VGPRBlocks: 7
; NumSGPRsForWavesPerEU: 14
; NumVGPRsForWavesPerEU: 62
; AccumOffset: 64
; Occupancy: 8
; WaveLimiterHint : 1
; COMPUTE_PGM_RSRC2:SCRATCH_EN: 0
; COMPUTE_PGM_RSRC2:USER_SGPR: 2
; COMPUTE_PGM_RSRC2:TRAP_HANDLER: 0
; COMPUTE_PGM_RSRC2:TGID_X_EN: 1
; COMPUTE_PGM_RSRC2:TGID_Y_EN: 0
; COMPUTE_PGM_RSRC2:TGID_Z_EN: 0
; COMPUTE_PGM_RSRC2:TIDIG_COMP_CNT: 0
; COMPUTE_PGM_RSRC3_GFX90A:ACCUM_OFFSET: 15
; COMPUTE_PGM_RSRC3_GFX90A:TG_SPLIT: 0
	.section	.text._Z16warp_load_kernelILj256ELj32ELj64ELN6hipcub17WarpLoadAlgorithmE0EdEvPT3_S3_,"axG",@progbits,_Z16warp_load_kernelILj256ELj32ELj64ELN6hipcub17WarpLoadAlgorithmE0EdEvPT3_S3_,comdat
	.protected	_Z16warp_load_kernelILj256ELj32ELj64ELN6hipcub17WarpLoadAlgorithmE0EdEvPT3_S3_ ; -- Begin function _Z16warp_load_kernelILj256ELj32ELj64ELN6hipcub17WarpLoadAlgorithmE0EdEvPT3_S3_
	.globl	_Z16warp_load_kernelILj256ELj32ELj64ELN6hipcub17WarpLoadAlgorithmE0EdEvPT3_S3_
	.p2align	8
	.type	_Z16warp_load_kernelILj256ELj32ELj64ELN6hipcub17WarpLoadAlgorithmE0EdEvPT3_S3_,@function
_Z16warp_load_kernelILj256ELj32ELj64ELN6hipcub17WarpLoadAlgorithmE0EdEvPT3_S3_: ; @_Z16warp_load_kernelILj256ELj32ELj64ELN6hipcub17WarpLoadAlgorithmE0EdEvPT3_S3_
; %bb.0:
	s_load_dwordx4 s[4:7], s[0:1], 0x0
	v_lshlrev_b32_e32 v2, 5, v0
	v_mbcnt_lo_u32_b32 v1, -1, 0
	s_lshl_b32 s0, s2, 13
	v_and_b32_e32 v2, 0x1800, v2
	s_waitcnt lgkmcnt(0)
	v_mov_b32_e32 v4, s4
	v_mov_b32_e32 v5, s5
	v_mbcnt_hi_u32_b32 v1, -1, v1
	v_or_b32_e32 v2, s0, v2
	v_mov_b32_e32 v3, 0
	v_lshl_add_u64 v[4:5], v[2:3], 3, v[4:5]
	v_lshlrev_b32_e32 v2, 8, v1
	v_lshl_add_u64 v[68:69], v[4:5], 0, v[2:3]
	global_load_dwordx4 v[4:7], v[68:69], off
	global_load_dwordx4 v[8:11], v[68:69], off offset:16
	global_load_dwordx4 v[12:15], v[68:69], off offset:32
	;; [unrolled: 1-line block ×15, first 2 shown]
	v_or_b32_e32 v2, s0, v0
	v_mov_b32_e32 v1, v3
	v_or_b32_e32 v0, 0x200, v2
	v_mov_b32_e32 v71, v3
	v_mov_b32_e32 v73, v3
	;; [unrolled: 1-line block ×13, first 2 shown]
	v_lshl_add_u64 v[68:69], v[2:3], 3, s[6:7]
	v_or_b32_e32 v70, 0x300, v2
	v_or_b32_e32 v72, 0x400, v2
	;; [unrolled: 1-line block ×13, first 2 shown]
	v_lshl_add_u64 v[0:1], v[0:1], 3, s[6:7]
	v_lshl_add_u64 v[70:71], v[70:71], 3, s[6:7]
	;; [unrolled: 1-line block ×13, first 2 shown]
	s_waitcnt vmcnt(15)
	global_store_dwordx2 v[68:69], v[4:5], off
	global_store_dwordx2 v[68:69], v[6:7], off offset:2048
	s_waitcnt vmcnt(16)
	global_store_dwordx2 v[0:1], v[8:9], off
	global_store_dwordx2 v[70:71], v[10:11], off
	s_waitcnt vmcnt(17)
	global_store_dwordx2 v[72:73], v[12:13], off
	global_store_dwordx2 v[74:75], v[14:15], off
	;; [unrolled: 3-line block ×6, first 2 shown]
	s_waitcnt vmcnt(22)
	global_store_dwordx2 v[92:93], v[32:33], off
	v_lshl_add_u64 v[0:1], v[94:95], 3, s[6:7]
	global_store_dwordx2 v[0:1], v[34:35], off
	v_or_b32_e32 v0, 0x1000, v2
	v_mov_b32_e32 v1, v3
	v_lshl_add_u64 v[0:1], v[0:1], 3, s[6:7]
	s_waitcnt vmcnt(23)
	global_store_dwordx2 v[0:1], v[36:37], off
	v_or_b32_e32 v0, 0x1100, v2
	v_mov_b32_e32 v1, v3
	v_lshl_add_u64 v[0:1], v[0:1], 3, s[6:7]
	global_store_dwordx2 v[0:1], v[38:39], off
	v_or_b32_e32 v0, 0x1200, v2
	v_mov_b32_e32 v1, v3
	v_lshl_add_u64 v[0:1], v[0:1], 3, s[6:7]
	s_waitcnt vmcnt(24)
	global_store_dwordx2 v[0:1], v[40:41], off
	v_or_b32_e32 v0, 0x1300, v2
	v_mov_b32_e32 v1, v3
	;; [unrolled: 9-line block ×3, first 2 shown]
	v_lshl_add_u64 v[0:1], v[0:1], 3, s[6:7]
	global_store_dwordx2 v[0:1], v[50:51], off
	v_or_b32_e32 v0, 0x1600, v2
	v_mov_b32_e32 v1, v3
	v_lshl_add_u64 v[0:1], v[0:1], 3, s[6:7]
	global_store_dwordx2 v[0:1], v[44:45], off
	v_or_b32_e32 v0, 0x1700, v2
	v_mov_b32_e32 v1, v3
	;; [unrolled: 4-line block ×3, first 2 shown]
	v_lshl_add_u64 v[0:1], v[0:1], 3, s[6:7]
	s_waitcnt vmcnt(24)
	global_store_dwordx2 v[0:1], v[64:65], off
	v_or_b32_e32 v0, 0x1900, v2
	v_mov_b32_e32 v1, v3
	v_lshl_add_u64 v[0:1], v[0:1], 3, s[6:7]
	global_store_dwordx2 v[0:1], v[66:67], off
	v_or_b32_e32 v0, 0x1a00, v2
	v_mov_b32_e32 v1, v3
	v_lshl_add_u64 v[0:1], v[0:1], 3, s[6:7]
	;; [unrolled: 4-line block ×6, first 2 shown]
	v_or_b32_e32 v2, 0x1f00, v2
	global_store_dwordx2 v[0:1], v[52:53], off
	v_lshl_add_u64 v[0:1], v[2:3], 3, s[6:7]
	global_store_dwordx2 v[0:1], v[54:55], off
	s_endpgm
	.section	.rodata,"a",@progbits
	.p2align	6, 0x0
	.amdhsa_kernel _Z16warp_load_kernelILj256ELj32ELj64ELN6hipcub17WarpLoadAlgorithmE0EdEvPT3_S3_
		.amdhsa_group_segment_fixed_size 0
		.amdhsa_private_segment_fixed_size 0
		.amdhsa_kernarg_size 16
		.amdhsa_user_sgpr_count 2
		.amdhsa_user_sgpr_dispatch_ptr 0
		.amdhsa_user_sgpr_queue_ptr 0
		.amdhsa_user_sgpr_kernarg_segment_ptr 1
		.amdhsa_user_sgpr_dispatch_id 0
		.amdhsa_user_sgpr_kernarg_preload_length 0
		.amdhsa_user_sgpr_kernarg_preload_offset 0
		.amdhsa_user_sgpr_private_segment_size 0
		.amdhsa_uses_dynamic_stack 0
		.amdhsa_enable_private_segment 0
		.amdhsa_system_sgpr_workgroup_id_x 1
		.amdhsa_system_sgpr_workgroup_id_y 0
		.amdhsa_system_sgpr_workgroup_id_z 0
		.amdhsa_system_sgpr_workgroup_info 0
		.amdhsa_system_vgpr_workitem_id 0
		.amdhsa_next_free_vgpr 96
		.amdhsa_next_free_sgpr 8
		.amdhsa_accum_offset 96
		.amdhsa_reserve_vcc 0
		.amdhsa_float_round_mode_32 0
		.amdhsa_float_round_mode_16_64 0
		.amdhsa_float_denorm_mode_32 3
		.amdhsa_float_denorm_mode_16_64 3
		.amdhsa_dx10_clamp 1
		.amdhsa_ieee_mode 1
		.amdhsa_fp16_overflow 0
		.amdhsa_tg_split 0
		.amdhsa_exception_fp_ieee_invalid_op 0
		.amdhsa_exception_fp_denorm_src 0
		.amdhsa_exception_fp_ieee_div_zero 0
		.amdhsa_exception_fp_ieee_overflow 0
		.amdhsa_exception_fp_ieee_underflow 0
		.amdhsa_exception_fp_ieee_inexact 0
		.amdhsa_exception_int_div_zero 0
	.end_amdhsa_kernel
	.section	.text._Z16warp_load_kernelILj256ELj32ELj64ELN6hipcub17WarpLoadAlgorithmE0EdEvPT3_S3_,"axG",@progbits,_Z16warp_load_kernelILj256ELj32ELj64ELN6hipcub17WarpLoadAlgorithmE0EdEvPT3_S3_,comdat
.Lfunc_end67:
	.size	_Z16warp_load_kernelILj256ELj32ELj64ELN6hipcub17WarpLoadAlgorithmE0EdEvPT3_S3_, .Lfunc_end67-_Z16warp_load_kernelILj256ELj32ELj64ELN6hipcub17WarpLoadAlgorithmE0EdEvPT3_S3_
                                        ; -- End function
	.section	.AMDGPU.csdata,"",@progbits
; Kernel info:
; codeLenInByte = 1124
; NumSgprs: 14
; NumVgprs: 96
; NumAgprs: 0
; TotalNumVgprs: 96
; ScratchSize: 0
; MemoryBound: 1
; FloatMode: 240
; IeeeMode: 1
; LDSByteSize: 0 bytes/workgroup (compile time only)
; SGPRBlocks: 1
; VGPRBlocks: 11
; NumSGPRsForWavesPerEU: 14
; NumVGPRsForWavesPerEU: 96
; AccumOffset: 96
; Occupancy: 5
; WaveLimiterHint : 1
; COMPUTE_PGM_RSRC2:SCRATCH_EN: 0
; COMPUTE_PGM_RSRC2:USER_SGPR: 2
; COMPUTE_PGM_RSRC2:TRAP_HANDLER: 0
; COMPUTE_PGM_RSRC2:TGID_X_EN: 1
; COMPUTE_PGM_RSRC2:TGID_Y_EN: 0
; COMPUTE_PGM_RSRC2:TGID_Z_EN: 0
; COMPUTE_PGM_RSRC2:TIDIG_COMP_CNT: 0
; COMPUTE_PGM_RSRC3_GFX90A:ACCUM_OFFSET: 23
; COMPUTE_PGM_RSRC3_GFX90A:TG_SPLIT: 0
	.section	.text._Z16warp_load_kernelILj256ELj32ELj64ELN6hipcub17WarpLoadAlgorithmE1EdEvPT3_S3_,"axG",@progbits,_Z16warp_load_kernelILj256ELj32ELj64ELN6hipcub17WarpLoadAlgorithmE1EdEvPT3_S3_,comdat
	.protected	_Z16warp_load_kernelILj256ELj32ELj64ELN6hipcub17WarpLoadAlgorithmE1EdEvPT3_S3_ ; -- Begin function _Z16warp_load_kernelILj256ELj32ELj64ELN6hipcub17WarpLoadAlgorithmE1EdEvPT3_S3_
	.globl	_Z16warp_load_kernelILj256ELj32ELj64ELN6hipcub17WarpLoadAlgorithmE1EdEvPT3_S3_
	.p2align	8
	.type	_Z16warp_load_kernelILj256ELj32ELj64ELN6hipcub17WarpLoadAlgorithmE1EdEvPT3_S3_,@function
_Z16warp_load_kernelILj256ELj32ELj64ELN6hipcub17WarpLoadAlgorithmE1EdEvPT3_S3_: ; @_Z16warp_load_kernelILj256ELj32ELj64ELN6hipcub17WarpLoadAlgorithmE1EdEvPT3_S3_
; %bb.0:
	s_load_dwordx4 s[4:7], s[0:1], 0x0
	v_lshlrev_b32_e32 v2, 5, v0
	v_mbcnt_lo_u32_b32 v1, -1, 0
	s_lshl_b32 s0, s2, 13
	v_and_b32_e32 v2, 0x1800, v2
	s_waitcnt lgkmcnt(0)
	v_mov_b32_e32 v4, s4
	v_mov_b32_e32 v5, s5
	v_mbcnt_hi_u32_b32 v1, -1, v1
	v_or_b32_e32 v2, s0, v2
	v_mov_b32_e32 v3, 0
	v_lshl_add_u64 v[4:5], v[2:3], 3, v[4:5]
	v_lshlrev_b32_e32 v2, 3, v1
	v_lshlrev_b32_e32 v1, 8, v1
	v_lshl_add_u64 v[4:5], v[4:5], 0, v[2:3]
	v_and_b32_e32 v2, 0x4000, v1
	v_lshl_add_u64 v[4:5], v[4:5], 0, v[2:3]
	global_load_dwordx2 v[6:7], v[4:5], off
	global_load_dwordx2 v[8:9], v[4:5], off offset:512
	global_load_dwordx2 v[10:11], v[4:5], off offset:1024
	;; [unrolled: 1-line block ×3, first 2 shown]
	s_movk_i32 s2, 0x2000
	global_load_dwordx2 v[14:15], v[4:5], off offset:2048
	global_load_dwordx2 v[16:17], v[4:5], off offset:2560
	;; [unrolled: 1-line block ×4, first 2 shown]
	v_add_co_u32_e32 v22, vcc, s2, v4
	s_movk_i32 s1, 0x1000
	s_nop 0
	v_addc_co_u32_e32 v23, vcc, 0, v5, vcc
	global_load_dwordx2 v[24:25], v[22:23], off offset:-4096
	v_add_co_u32_e32 v26, vcc, s1, v4
	v_or_b32_e32 v2, s0, v0
	s_nop 0
	v_addc_co_u32_e32 v27, vcc, 0, v5, vcc
	global_load_dwordx2 v[28:29], v[26:27], off offset:512
	global_load_dwordx2 v[30:31], v[26:27], off offset:1024
	;; [unrolled: 1-line block ×6, first 2 shown]
	global_load_dwordx2 v[0:1], v[22:23], off
	s_movk_i32 s1, 0x3000
	global_load_dwordx2 v[26:27], v[26:27], off offset:3584
	v_add_co_u32_e32 v4, vcc, s1, v4
	v_lshl_add_u64 v[40:41], v[2:3], 3, s[6:7]
	s_nop 0
	v_addc_co_u32_e32 v5, vcc, 0, v5, vcc
	global_load_dwordx2 v[42:43], v[22:23], off offset:512
	global_load_dwordx2 v[44:45], v[22:23], off offset:1024
	;; [unrolled: 1-line block ×7, first 2 shown]
	global_load_dwordx2 v[56:57], v[4:5], off
	global_load_dwordx2 v[58:59], v[4:5], off offset:512
	global_load_dwordx2 v[60:61], v[4:5], off offset:1024
	;; [unrolled: 1-line block ×7, first 2 shown]
	v_mov_b32_e32 v5, v3
	v_or_b32_e32 v4, 0x200, v2
	v_lshl_add_u64 v[4:5], v[4:5], 3, s[6:7]
	s_waitcnt vmcnt(31)
	global_store_dwordx2 v[40:41], v[6:7], off
	v_mov_b32_e32 v7, v3
	v_or_b32_e32 v6, 0x300, v2
	s_waitcnt vmcnt(31)
	global_store_dwordx2 v[40:41], v[8:9], off offset:2048
	v_mov_b32_e32 v9, v3
	s_waitcnt vmcnt(31)
	global_store_dwordx2 v[4:5], v[10:11], off
	v_mov_b32_e32 v5, v3
	v_or_b32_e32 v8, 0x400, v2
	v_or_b32_e32 v4, 0x500, v2
	v_lshl_add_u64 v[6:7], v[6:7], 3, s[6:7]
	v_mov_b32_e32 v11, v3
	v_or_b32_e32 v10, 0x600, v2
	s_waitcnt vmcnt(31)
	global_store_dwordx2 v[6:7], v[12:13], off
	v_or_b32_e32 v6, 0x700, v2
	v_lshl_add_u64 v[8:9], v[8:9], 3, s[6:7]
	v_lshl_add_u64 v[4:5], v[4:5], 3, s[6:7]
	v_mov_b32_e32 v7, v3
	v_lshl_add_u64 v[10:11], v[10:11], 3, s[6:7]
	s_waitcnt vmcnt(31)
	global_store_dwordx2 v[8:9], v[14:15], off
	s_waitcnt vmcnt(31)
	global_store_dwordx2 v[4:5], v[16:17], off
	;; [unrolled: 2-line block ×3, first 2 shown]
	v_lshl_add_u64 v[4:5], v[6:7], 3, s[6:7]
	s_waitcnt vmcnt(31)
	global_store_dwordx2 v[4:5], v[20:21], off
	v_or_b32_e32 v4, 0x800, v2
	v_mov_b32_e32 v5, v3
	v_lshl_add_u64 v[4:5], v[4:5], 3, s[6:7]
	s_waitcnt vmcnt(31)
	global_store_dwordx2 v[4:5], v[24:25], off
	v_or_b32_e32 v4, 0x900, v2
	v_mov_b32_e32 v5, v3
	;; [unrolled: 5-line block ×9, first 2 shown]
	v_lshl_add_u64 v[4:5], v[4:5], 3, s[6:7]
	global_store_dwordx2 v[4:5], v[0:1], off
	v_or_b32_e32 v0, 0x1100, v2
	v_mov_b32_e32 v1, v3
	v_lshl_add_u64 v[0:1], v[0:1], 3, s[6:7]
	s_waitcnt vmcnt(31)
	global_store_dwordx2 v[0:1], v[42:43], off
	v_or_b32_e32 v0, 0x1200, v2
	v_mov_b32_e32 v1, v3
	v_lshl_add_u64 v[0:1], v[0:1], 3, s[6:7]
	s_waitcnt vmcnt(31)
	;; [unrolled: 5-line block ×13, first 2 shown]
	global_store_dwordx2 v[0:1], v[66:67], off
	v_or_b32_e32 v0, 0x1e00, v2
	v_mov_b32_e32 v1, v3
	v_lshl_add_u64 v[0:1], v[0:1], 3, s[6:7]
	v_or_b32_e32 v2, 0x1f00, v2
	s_waitcnt vmcnt(31)
	global_store_dwordx2 v[0:1], v[68:69], off
	v_lshl_add_u64 v[0:1], v[2:3], 3, s[6:7]
	s_waitcnt vmcnt(31)
	global_store_dwordx2 v[0:1], v[70:71], off
	s_endpgm
	.section	.rodata,"a",@progbits
	.p2align	6, 0x0
	.amdhsa_kernel _Z16warp_load_kernelILj256ELj32ELj64ELN6hipcub17WarpLoadAlgorithmE1EdEvPT3_S3_
		.amdhsa_group_segment_fixed_size 0
		.amdhsa_private_segment_fixed_size 0
		.amdhsa_kernarg_size 16
		.amdhsa_user_sgpr_count 2
		.amdhsa_user_sgpr_dispatch_ptr 0
		.amdhsa_user_sgpr_queue_ptr 0
		.amdhsa_user_sgpr_kernarg_segment_ptr 1
		.amdhsa_user_sgpr_dispatch_id 0
		.amdhsa_user_sgpr_kernarg_preload_length 0
		.amdhsa_user_sgpr_kernarg_preload_offset 0
		.amdhsa_user_sgpr_private_segment_size 0
		.amdhsa_uses_dynamic_stack 0
		.amdhsa_enable_private_segment 0
		.amdhsa_system_sgpr_workgroup_id_x 1
		.amdhsa_system_sgpr_workgroup_id_y 0
		.amdhsa_system_sgpr_workgroup_id_z 0
		.amdhsa_system_sgpr_workgroup_info 0
		.amdhsa_system_vgpr_workitem_id 0
		.amdhsa_next_free_vgpr 72
		.amdhsa_next_free_sgpr 8
		.amdhsa_accum_offset 72
		.amdhsa_reserve_vcc 1
		.amdhsa_float_round_mode_32 0
		.amdhsa_float_round_mode_16_64 0
		.amdhsa_float_denorm_mode_32 3
		.amdhsa_float_denorm_mode_16_64 3
		.amdhsa_dx10_clamp 1
		.amdhsa_ieee_mode 1
		.amdhsa_fp16_overflow 0
		.amdhsa_tg_split 0
		.amdhsa_exception_fp_ieee_invalid_op 0
		.amdhsa_exception_fp_denorm_src 0
		.amdhsa_exception_fp_ieee_div_zero 0
		.amdhsa_exception_fp_ieee_overflow 0
		.amdhsa_exception_fp_ieee_underflow 0
		.amdhsa_exception_fp_ieee_inexact 0
		.amdhsa_exception_int_div_zero 0
	.end_amdhsa_kernel
	.section	.text._Z16warp_load_kernelILj256ELj32ELj64ELN6hipcub17WarpLoadAlgorithmE1EdEvPT3_S3_,"axG",@progbits,_Z16warp_load_kernelILj256ELj32ELj64ELN6hipcub17WarpLoadAlgorithmE1EdEvPT3_S3_,comdat
.Lfunc_end68:
	.size	_Z16warp_load_kernelILj256ELj32ELj64ELN6hipcub17WarpLoadAlgorithmE1EdEvPT3_S3_, .Lfunc_end68-_Z16warp_load_kernelILj256ELj32ELj64ELN6hipcub17WarpLoadAlgorithmE1EdEvPT3_S3_
                                        ; -- End function
	.section	.AMDGPU.csdata,"",@progbits
; Kernel info:
; codeLenInByte = 1396
; NumSgprs: 14
; NumVgprs: 72
; NumAgprs: 0
; TotalNumVgprs: 72
; ScratchSize: 0
; MemoryBound: 1
; FloatMode: 240
; IeeeMode: 1
; LDSByteSize: 0 bytes/workgroup (compile time only)
; SGPRBlocks: 1
; VGPRBlocks: 8
; NumSGPRsForWavesPerEU: 14
; NumVGPRsForWavesPerEU: 72
; AccumOffset: 72
; Occupancy: 7
; WaveLimiterHint : 1
; COMPUTE_PGM_RSRC2:SCRATCH_EN: 0
; COMPUTE_PGM_RSRC2:USER_SGPR: 2
; COMPUTE_PGM_RSRC2:TRAP_HANDLER: 0
; COMPUTE_PGM_RSRC2:TGID_X_EN: 1
; COMPUTE_PGM_RSRC2:TGID_Y_EN: 0
; COMPUTE_PGM_RSRC2:TGID_Z_EN: 0
; COMPUTE_PGM_RSRC2:TIDIG_COMP_CNT: 0
; COMPUTE_PGM_RSRC3_GFX90A:ACCUM_OFFSET: 17
; COMPUTE_PGM_RSRC3_GFX90A:TG_SPLIT: 0
	.section	.text._Z16warp_load_kernelILj256ELj32ELj64ELN6hipcub17WarpLoadAlgorithmE2EdEvPT3_S3_,"axG",@progbits,_Z16warp_load_kernelILj256ELj32ELj64ELN6hipcub17WarpLoadAlgorithmE2EdEvPT3_S3_,comdat
	.protected	_Z16warp_load_kernelILj256ELj32ELj64ELN6hipcub17WarpLoadAlgorithmE2EdEvPT3_S3_ ; -- Begin function _Z16warp_load_kernelILj256ELj32ELj64ELN6hipcub17WarpLoadAlgorithmE2EdEvPT3_S3_
	.globl	_Z16warp_load_kernelILj256ELj32ELj64ELN6hipcub17WarpLoadAlgorithmE2EdEvPT3_S3_
	.p2align	8
	.type	_Z16warp_load_kernelILj256ELj32ELj64ELN6hipcub17WarpLoadAlgorithmE2EdEvPT3_S3_,@function
_Z16warp_load_kernelILj256ELj32ELj64ELN6hipcub17WarpLoadAlgorithmE2EdEvPT3_S3_: ; @_Z16warp_load_kernelILj256ELj32ELj64ELN6hipcub17WarpLoadAlgorithmE2EdEvPT3_S3_
; %bb.0:
	s_load_dwordx4 s[4:7], s[0:1], 0x0
	v_lshlrev_b32_e32 v2, 5, v0
	v_mbcnt_lo_u32_b32 v1, -1, 0
	s_lshl_b32 s0, s2, 13
	v_and_b32_e32 v2, 0x1800, v2
	s_waitcnt lgkmcnt(0)
	v_mov_b32_e32 v4, s4
	v_mov_b32_e32 v5, s5
	v_mbcnt_hi_u32_b32 v1, -1, v1
	v_or_b32_e32 v2, s0, v2
	v_mov_b32_e32 v3, 0
	v_lshl_add_u64 v[4:5], v[2:3], 3, v[4:5]
	v_lshlrev_b32_e32 v2, 8, v1
	v_lshl_add_u64 v[68:69], v[4:5], 0, v[2:3]
	global_load_dwordx4 v[4:7], v[68:69], off
	global_load_dwordx4 v[8:11], v[68:69], off offset:16
	global_load_dwordx4 v[12:15], v[68:69], off offset:32
	;; [unrolled: 1-line block ×15, first 2 shown]
	v_or_b32_e32 v2, s0, v0
	v_mov_b32_e32 v1, v3
	v_or_b32_e32 v0, 0x200, v2
	v_mov_b32_e32 v71, v3
	v_mov_b32_e32 v73, v3
	v_mov_b32_e32 v75, v3
	v_mov_b32_e32 v77, v3
	v_mov_b32_e32 v79, v3
	v_mov_b32_e32 v81, v3
	v_mov_b32_e32 v83, v3
	v_mov_b32_e32 v85, v3
	v_mov_b32_e32 v87, v3
	v_mov_b32_e32 v89, v3
	v_mov_b32_e32 v91, v3
	v_mov_b32_e32 v93, v3
	v_mov_b32_e32 v95, v3
	v_lshl_add_u64 v[68:69], v[2:3], 3, s[6:7]
	v_or_b32_e32 v70, 0x300, v2
	v_or_b32_e32 v72, 0x400, v2
	;; [unrolled: 1-line block ×13, first 2 shown]
	v_lshl_add_u64 v[0:1], v[0:1], 3, s[6:7]
	v_lshl_add_u64 v[70:71], v[70:71], 3, s[6:7]
	;; [unrolled: 1-line block ×13, first 2 shown]
	s_waitcnt vmcnt(15)
	global_store_dwordx2 v[68:69], v[4:5], off
	global_store_dwordx2 v[68:69], v[6:7], off offset:2048
	s_waitcnt vmcnt(16)
	global_store_dwordx2 v[0:1], v[8:9], off
	global_store_dwordx2 v[70:71], v[10:11], off
	s_waitcnt vmcnt(17)
	global_store_dwordx2 v[72:73], v[12:13], off
	global_store_dwordx2 v[74:75], v[14:15], off
	;; [unrolled: 3-line block ×6, first 2 shown]
	s_waitcnt vmcnt(22)
	global_store_dwordx2 v[92:93], v[32:33], off
	v_lshl_add_u64 v[0:1], v[94:95], 3, s[6:7]
	global_store_dwordx2 v[0:1], v[34:35], off
	v_or_b32_e32 v0, 0x1000, v2
	v_mov_b32_e32 v1, v3
	v_lshl_add_u64 v[0:1], v[0:1], 3, s[6:7]
	s_waitcnt vmcnt(23)
	global_store_dwordx2 v[0:1], v[36:37], off
	v_or_b32_e32 v0, 0x1100, v2
	v_mov_b32_e32 v1, v3
	v_lshl_add_u64 v[0:1], v[0:1], 3, s[6:7]
	global_store_dwordx2 v[0:1], v[38:39], off
	v_or_b32_e32 v0, 0x1200, v2
	v_mov_b32_e32 v1, v3
	v_lshl_add_u64 v[0:1], v[0:1], 3, s[6:7]
	s_waitcnt vmcnt(24)
	global_store_dwordx2 v[0:1], v[40:41], off
	v_or_b32_e32 v0, 0x1300, v2
	v_mov_b32_e32 v1, v3
	;; [unrolled: 9-line block ×3, first 2 shown]
	v_lshl_add_u64 v[0:1], v[0:1], 3, s[6:7]
	global_store_dwordx2 v[0:1], v[50:51], off
	v_or_b32_e32 v0, 0x1600, v2
	v_mov_b32_e32 v1, v3
	v_lshl_add_u64 v[0:1], v[0:1], 3, s[6:7]
	global_store_dwordx2 v[0:1], v[44:45], off
	v_or_b32_e32 v0, 0x1700, v2
	v_mov_b32_e32 v1, v3
	;; [unrolled: 4-line block ×3, first 2 shown]
	v_lshl_add_u64 v[0:1], v[0:1], 3, s[6:7]
	s_waitcnt vmcnt(24)
	global_store_dwordx2 v[0:1], v[64:65], off
	v_or_b32_e32 v0, 0x1900, v2
	v_mov_b32_e32 v1, v3
	v_lshl_add_u64 v[0:1], v[0:1], 3, s[6:7]
	global_store_dwordx2 v[0:1], v[66:67], off
	v_or_b32_e32 v0, 0x1a00, v2
	v_mov_b32_e32 v1, v3
	v_lshl_add_u64 v[0:1], v[0:1], 3, s[6:7]
	;; [unrolled: 4-line block ×6, first 2 shown]
	v_or_b32_e32 v2, 0x1f00, v2
	global_store_dwordx2 v[0:1], v[52:53], off
	v_lshl_add_u64 v[0:1], v[2:3], 3, s[6:7]
	global_store_dwordx2 v[0:1], v[54:55], off
	s_endpgm
	.section	.rodata,"a",@progbits
	.p2align	6, 0x0
	.amdhsa_kernel _Z16warp_load_kernelILj256ELj32ELj64ELN6hipcub17WarpLoadAlgorithmE2EdEvPT3_S3_
		.amdhsa_group_segment_fixed_size 0
		.amdhsa_private_segment_fixed_size 0
		.amdhsa_kernarg_size 16
		.amdhsa_user_sgpr_count 2
		.amdhsa_user_sgpr_dispatch_ptr 0
		.amdhsa_user_sgpr_queue_ptr 0
		.amdhsa_user_sgpr_kernarg_segment_ptr 1
		.amdhsa_user_sgpr_dispatch_id 0
		.amdhsa_user_sgpr_kernarg_preload_length 0
		.amdhsa_user_sgpr_kernarg_preload_offset 0
		.amdhsa_user_sgpr_private_segment_size 0
		.amdhsa_uses_dynamic_stack 0
		.amdhsa_enable_private_segment 0
		.amdhsa_system_sgpr_workgroup_id_x 1
		.amdhsa_system_sgpr_workgroup_id_y 0
		.amdhsa_system_sgpr_workgroup_id_z 0
		.amdhsa_system_sgpr_workgroup_info 0
		.amdhsa_system_vgpr_workitem_id 0
		.amdhsa_next_free_vgpr 96
		.amdhsa_next_free_sgpr 8
		.amdhsa_accum_offset 96
		.amdhsa_reserve_vcc 0
		.amdhsa_float_round_mode_32 0
		.amdhsa_float_round_mode_16_64 0
		.amdhsa_float_denorm_mode_32 3
		.amdhsa_float_denorm_mode_16_64 3
		.amdhsa_dx10_clamp 1
		.amdhsa_ieee_mode 1
		.amdhsa_fp16_overflow 0
		.amdhsa_tg_split 0
		.amdhsa_exception_fp_ieee_invalid_op 0
		.amdhsa_exception_fp_denorm_src 0
		.amdhsa_exception_fp_ieee_div_zero 0
		.amdhsa_exception_fp_ieee_overflow 0
		.amdhsa_exception_fp_ieee_underflow 0
		.amdhsa_exception_fp_ieee_inexact 0
		.amdhsa_exception_int_div_zero 0
	.end_amdhsa_kernel
	.section	.text._Z16warp_load_kernelILj256ELj32ELj64ELN6hipcub17WarpLoadAlgorithmE2EdEvPT3_S3_,"axG",@progbits,_Z16warp_load_kernelILj256ELj32ELj64ELN6hipcub17WarpLoadAlgorithmE2EdEvPT3_S3_,comdat
.Lfunc_end69:
	.size	_Z16warp_load_kernelILj256ELj32ELj64ELN6hipcub17WarpLoadAlgorithmE2EdEvPT3_S3_, .Lfunc_end69-_Z16warp_load_kernelILj256ELj32ELj64ELN6hipcub17WarpLoadAlgorithmE2EdEvPT3_S3_
                                        ; -- End function
	.section	.AMDGPU.csdata,"",@progbits
; Kernel info:
; codeLenInByte = 1124
; NumSgprs: 14
; NumVgprs: 96
; NumAgprs: 0
; TotalNumVgprs: 96
; ScratchSize: 0
; MemoryBound: 1
; FloatMode: 240
; IeeeMode: 1
; LDSByteSize: 0 bytes/workgroup (compile time only)
; SGPRBlocks: 1
; VGPRBlocks: 11
; NumSGPRsForWavesPerEU: 14
; NumVGPRsForWavesPerEU: 96
; AccumOffset: 96
; Occupancy: 5
; WaveLimiterHint : 1
; COMPUTE_PGM_RSRC2:SCRATCH_EN: 0
; COMPUTE_PGM_RSRC2:USER_SGPR: 2
; COMPUTE_PGM_RSRC2:TRAP_HANDLER: 0
; COMPUTE_PGM_RSRC2:TGID_X_EN: 1
; COMPUTE_PGM_RSRC2:TGID_Y_EN: 0
; COMPUTE_PGM_RSRC2:TGID_Z_EN: 0
; COMPUTE_PGM_RSRC2:TIDIG_COMP_CNT: 0
; COMPUTE_PGM_RSRC3_GFX90A:ACCUM_OFFSET: 23
; COMPUTE_PGM_RSRC3_GFX90A:TG_SPLIT: 0
	.section	.text._Z16warp_load_kernelILj256ELj64ELj64ELN6hipcub17WarpLoadAlgorithmE0EdEvPT3_S3_,"axG",@progbits,_Z16warp_load_kernelILj256ELj64ELj64ELN6hipcub17WarpLoadAlgorithmE0EdEvPT3_S3_,comdat
	.protected	_Z16warp_load_kernelILj256ELj64ELj64ELN6hipcub17WarpLoadAlgorithmE0EdEvPT3_S3_ ; -- Begin function _Z16warp_load_kernelILj256ELj64ELj64ELN6hipcub17WarpLoadAlgorithmE0EdEvPT3_S3_
	.globl	_Z16warp_load_kernelILj256ELj64ELj64ELN6hipcub17WarpLoadAlgorithmE0EdEvPT3_S3_
	.p2align	8
	.type	_Z16warp_load_kernelILj256ELj64ELj64ELN6hipcub17WarpLoadAlgorithmE0EdEvPT3_S3_,@function
_Z16warp_load_kernelILj256ELj64ELj64ELN6hipcub17WarpLoadAlgorithmE0EdEvPT3_S3_: ; @_Z16warp_load_kernelILj256ELj64ELj64ELN6hipcub17WarpLoadAlgorithmE0EdEvPT3_S3_
; %bb.0:
	s_load_dwordx4 s[4:7], s[0:1], 0x0
	v_lshlrev_b32_e32 v2, 6, v0
	v_mbcnt_lo_u32_b32 v1, -1, 0
	s_lshl_b32 s0, s2, 14
	v_and_b32_e32 v2, 0x3000, v2
	s_waitcnt lgkmcnt(0)
	v_mov_b32_e32 v4, s4
	v_mov_b32_e32 v5, s5
	v_mbcnt_hi_u32_b32 v1, -1, v1
	v_or_b32_e32 v2, s0, v2
	v_mov_b32_e32 v3, 0
	v_lshl_add_u64 v[4:5], v[2:3], 3, v[4:5]
	v_lshlrev_b32_e32 v2, 9, v1
	v_lshl_add_u64 v[4:5], v[4:5], 0, v[2:3]
	global_load_dwordx4 v[6:9], v[4:5], off
	global_load_dwordx4 v[10:13], v[4:5], off offset:16
	global_load_dwordx4 v[14:17], v[4:5], off offset:32
	;; [unrolled: 1-line block ×31, first 2 shown]
	v_or_b32_e32 v2, s0, v0
	v_mov_b32_e32 v1, v3
	v_or_b32_e32 v0, 0x200, v2
	v_mov_b32_e32 v135, v3
	v_mov_b32_e32 v137, v3
	;; [unrolled: 1-line block ×9, first 2 shown]
	v_lshl_add_u64 v[4:5], v[2:3], 3, s[6:7]
	v_or_b32_e32 v134, 0x300, v2
	v_or_b32_e32 v136, 0x400, v2
	;; [unrolled: 1-line block ×9, first 2 shown]
	v_lshl_add_u64 v[0:1], v[0:1], 3, s[6:7]
	v_lshl_add_u64 v[134:135], v[134:135], 3, s[6:7]
	;; [unrolled: 1-line block ×9, first 2 shown]
	s_waitcnt vmcnt(31)
	global_store_dwordx2 v[4:5], v[6:7], off
	global_store_dwordx2 v[4:5], v[8:9], off offset:2048
	s_waitcnt vmcnt(32)
	global_store_dwordx2 v[0:1], v[10:11], off
	global_store_dwordx2 v[134:135], v[12:13], off
	s_waitcnt vmcnt(33)
	global_store_dwordx2 v[136:137], v[14:15], off
	global_store_dwordx2 v[138:139], v[16:17], off
	;; [unrolled: 3-line block ×4, first 2 shown]
	s_waitcnt vmcnt(36)
	global_store_dwordx2 v[148:149], v[26:27], off
	v_lshl_add_u64 v[0:1], v[150:151], 3, s[6:7]
	global_store_dwordx2 v[0:1], v[28:29], off
	v_or_b32_e32 v0, 0xc00, v2
	v_mov_b32_e32 v1, v3
	v_lshl_add_u64 v[0:1], v[0:1], 3, s[6:7]
	s_waitcnt vmcnt(37)
	global_store_dwordx2 v[0:1], v[30:31], off
	v_or_b32_e32 v0, 0xd00, v2
	v_mov_b32_e32 v1, v3
	v_lshl_add_u64 v[0:1], v[0:1], 3, s[6:7]
	global_store_dwordx2 v[0:1], v[32:33], off
	v_or_b32_e32 v0, 0xe00, v2
	v_mov_b32_e32 v1, v3
	v_lshl_add_u64 v[0:1], v[0:1], 3, s[6:7]
	s_waitcnt vmcnt(38)
	global_store_dwordx2 v[0:1], v[34:35], off
	v_or_b32_e32 v0, 0xf00, v2
	v_mov_b32_e32 v1, v3
	;; [unrolled: 9-line block ×3, first 2 shown]
	v_lshl_add_u64 v[0:1], v[0:1], 3, s[6:7]
	global_store_dwordx2 v[0:1], v[44:45], off
	v_or_b32_e32 v0, 0x1200, v2
	v_mov_b32_e32 v1, v3
	v_lshl_add_u64 v[0:1], v[0:1], 3, s[6:7]
	global_store_dwordx2 v[0:1], v[38:39], off
	v_or_b32_e32 v0, 0x1300, v2
	v_mov_b32_e32 v1, v3
	;; [unrolled: 4-line block ×3, first 2 shown]
	v_lshl_add_u64 v[0:1], v[0:1], 3, s[6:7]
	s_waitcnt vmcnt(40)
	global_store_dwordx2 v[0:1], v[50:51], off
	v_or_b32_e32 v0, 0x1500, v2
	v_mov_b32_e32 v1, v3
	v_lshl_add_u64 v[0:1], v[0:1], 3, s[6:7]
	global_store_dwordx2 v[0:1], v[52:53], off
	v_or_b32_e32 v0, 0x1600, v2
	v_mov_b32_e32 v1, v3
	v_lshl_add_u64 v[0:1], v[0:1], 3, s[6:7]
	global_store_dwordx2 v[0:1], v[46:47], off
	v_or_b32_e32 v0, 0x1700, v2
	v_mov_b32_e32 v1, v3
	v_lshl_add_u64 v[0:1], v[0:1], 3, s[6:7]
	global_store_dwordx2 v[0:1], v[48:49], off
	v_or_b32_e32 v0, 0x1800, v2
	v_mov_b32_e32 v1, v3
	v_lshl_add_u64 v[0:1], v[0:1], 3, s[6:7]
	s_waitcnt vmcnt(40)
	global_store_dwordx2 v[0:1], v[66:67], off
	v_or_b32_e32 v0, 0x1900, v2
	v_mov_b32_e32 v1, v3
	v_lshl_add_u64 v[0:1], v[0:1], 3, s[6:7]
	global_store_dwordx2 v[0:1], v[68:69], off
	v_or_b32_e32 v0, 0x1a00, v2
	v_mov_b32_e32 v1, v3
	v_lshl_add_u64 v[0:1], v[0:1], 3, s[6:7]
	global_store_dwordx2 v[0:1], v[62:63], off
	v_or_b32_e32 v0, 0x1b00, v2
	v_mov_b32_e32 v1, v3
	v_lshl_add_u64 v[0:1], v[0:1], 3, s[6:7]
	global_store_dwordx2 v[0:1], v[64:65], off
	v_or_b32_e32 v0, 0x1c00, v2
	v_mov_b32_e32 v1, v3
	v_lshl_add_u64 v[0:1], v[0:1], 3, s[6:7]
	global_store_dwordx2 v[0:1], v[58:59], off
	v_or_b32_e32 v0, 0x1d00, v2
	v_mov_b32_e32 v1, v3
	v_lshl_add_u64 v[0:1], v[0:1], 3, s[6:7]
	global_store_dwordx2 v[0:1], v[60:61], off
	v_or_b32_e32 v0, 0x1e00, v2
	v_mov_b32_e32 v1, v3
	v_lshl_add_u64 v[0:1], v[0:1], 3, s[6:7]
	global_store_dwordx2 v[0:1], v[54:55], off
	v_or_b32_e32 v0, 0x1f00, v2
	v_mov_b32_e32 v1, v3
	v_lshl_add_u64 v[0:1], v[0:1], 3, s[6:7]
	global_store_dwordx2 v[0:1], v[56:57], off
	v_or_b32_e32 v0, 0x2000, v2
	v_mov_b32_e32 v1, v3
	v_lshl_add_u64 v[0:1], v[0:1], 3, s[6:7]
	s_waitcnt vmcnt(44)
	global_store_dwordx2 v[0:1], v[82:83], off
	v_or_b32_e32 v0, 0x2100, v2
	v_mov_b32_e32 v1, v3
	v_lshl_add_u64 v[0:1], v[0:1], 3, s[6:7]
	global_store_dwordx2 v[0:1], v[84:85], off
	v_or_b32_e32 v0, 0x2200, v2
	v_mov_b32_e32 v1, v3
	v_lshl_add_u64 v[0:1], v[0:1], 3, s[6:7]
	global_store_dwordx2 v[0:1], v[78:79], off
	v_or_b32_e32 v0, 0x2300, v2
	v_mov_b32_e32 v1, v3
	v_lshl_add_u64 v[0:1], v[0:1], 3, s[6:7]
	global_store_dwordx2 v[0:1], v[80:81], off
	v_or_b32_e32 v0, 0x2400, v2
	v_mov_b32_e32 v1, v3
	v_lshl_add_u64 v[0:1], v[0:1], 3, s[6:7]
	;; [unrolled: 33-line block ×5, first 2 shown]
	global_store_dwordx2 v[0:1], v[122:123], off
	v_or_b32_e32 v0, 0x3d00, v2
	v_mov_b32_e32 v1, v3
	v_lshl_add_u64 v[0:1], v[0:1], 3, s[6:7]
	global_store_dwordx2 v[0:1], v[124:125], off
	v_or_b32_e32 v0, 0x3e00, v2
	v_mov_b32_e32 v1, v3
	v_lshl_add_u64 v[0:1], v[0:1], 3, s[6:7]
	v_or_b32_e32 v2, 0x3f00, v2
	global_store_dwordx2 v[0:1], v[118:119], off
	v_lshl_add_u64 v[0:1], v[2:3], 3, s[6:7]
	global_store_dwordx2 v[0:1], v[120:121], off
	s_endpgm
	.section	.rodata,"a",@progbits
	.p2align	6, 0x0
	.amdhsa_kernel _Z16warp_load_kernelILj256ELj64ELj64ELN6hipcub17WarpLoadAlgorithmE0EdEvPT3_S3_
		.amdhsa_group_segment_fixed_size 0
		.amdhsa_private_segment_fixed_size 0
		.amdhsa_kernarg_size 16
		.amdhsa_user_sgpr_count 2
		.amdhsa_user_sgpr_dispatch_ptr 0
		.amdhsa_user_sgpr_queue_ptr 0
		.amdhsa_user_sgpr_kernarg_segment_ptr 1
		.amdhsa_user_sgpr_dispatch_id 0
		.amdhsa_user_sgpr_kernarg_preload_length 0
		.amdhsa_user_sgpr_kernarg_preload_offset 0
		.amdhsa_user_sgpr_private_segment_size 0
		.amdhsa_uses_dynamic_stack 0
		.amdhsa_enable_private_segment 0
		.amdhsa_system_sgpr_workgroup_id_x 1
		.amdhsa_system_sgpr_workgroup_id_y 0
		.amdhsa_system_sgpr_workgroup_id_z 0
		.amdhsa_system_sgpr_workgroup_info 0
		.amdhsa_system_vgpr_workitem_id 0
		.amdhsa_next_free_vgpr 152
		.amdhsa_next_free_sgpr 8
		.amdhsa_accum_offset 152
		.amdhsa_reserve_vcc 0
		.amdhsa_float_round_mode_32 0
		.amdhsa_float_round_mode_16_64 0
		.amdhsa_float_denorm_mode_32 3
		.amdhsa_float_denorm_mode_16_64 3
		.amdhsa_dx10_clamp 1
		.amdhsa_ieee_mode 1
		.amdhsa_fp16_overflow 0
		.amdhsa_tg_split 0
		.amdhsa_exception_fp_ieee_invalid_op 0
		.amdhsa_exception_fp_denorm_src 0
		.amdhsa_exception_fp_ieee_div_zero 0
		.amdhsa_exception_fp_ieee_overflow 0
		.amdhsa_exception_fp_ieee_underflow 0
		.amdhsa_exception_fp_ieee_inexact 0
		.amdhsa_exception_int_div_zero 0
	.end_amdhsa_kernel
	.section	.text._Z16warp_load_kernelILj256ELj64ELj64ELN6hipcub17WarpLoadAlgorithmE0EdEvPT3_S3_,"axG",@progbits,_Z16warp_load_kernelILj256ELj64ELj64ELN6hipcub17WarpLoadAlgorithmE0EdEvPT3_S3_,comdat
.Lfunc_end70:
	.size	_Z16warp_load_kernelILj256ELj64ELj64ELN6hipcub17WarpLoadAlgorithmE0EdEvPT3_S3_, .Lfunc_end70-_Z16warp_load_kernelILj256ELj64ELj64ELN6hipcub17WarpLoadAlgorithmE0EdEvPT3_S3_
                                        ; -- End function
	.section	.AMDGPU.csdata,"",@progbits
; Kernel info:
; codeLenInByte = 2160
; NumSgprs: 14
; NumVgprs: 152
; NumAgprs: 0
; TotalNumVgprs: 152
; ScratchSize: 0
; MemoryBound: 1
; FloatMode: 240
; IeeeMode: 1
; LDSByteSize: 0 bytes/workgroup (compile time only)
; SGPRBlocks: 1
; VGPRBlocks: 18
; NumSGPRsForWavesPerEU: 14
; NumVGPRsForWavesPerEU: 152
; AccumOffset: 152
; Occupancy: 3
; WaveLimiterHint : 1
; COMPUTE_PGM_RSRC2:SCRATCH_EN: 0
; COMPUTE_PGM_RSRC2:USER_SGPR: 2
; COMPUTE_PGM_RSRC2:TRAP_HANDLER: 0
; COMPUTE_PGM_RSRC2:TGID_X_EN: 1
; COMPUTE_PGM_RSRC2:TGID_Y_EN: 0
; COMPUTE_PGM_RSRC2:TGID_Z_EN: 0
; COMPUTE_PGM_RSRC2:TIDIG_COMP_CNT: 0
; COMPUTE_PGM_RSRC3_GFX90A:ACCUM_OFFSET: 37
; COMPUTE_PGM_RSRC3_GFX90A:TG_SPLIT: 0
	.section	.text._Z16warp_load_kernelILj256ELj64ELj64ELN6hipcub17WarpLoadAlgorithmE1EdEvPT3_S3_,"axG",@progbits,_Z16warp_load_kernelILj256ELj64ELj64ELN6hipcub17WarpLoadAlgorithmE1EdEvPT3_S3_,comdat
	.protected	_Z16warp_load_kernelILj256ELj64ELj64ELN6hipcub17WarpLoadAlgorithmE1EdEvPT3_S3_ ; -- Begin function _Z16warp_load_kernelILj256ELj64ELj64ELN6hipcub17WarpLoadAlgorithmE1EdEvPT3_S3_
	.globl	_Z16warp_load_kernelILj256ELj64ELj64ELN6hipcub17WarpLoadAlgorithmE1EdEvPT3_S3_
	.p2align	8
	.type	_Z16warp_load_kernelILj256ELj64ELj64ELN6hipcub17WarpLoadAlgorithmE1EdEvPT3_S3_,@function
_Z16warp_load_kernelILj256ELj64ELj64ELN6hipcub17WarpLoadAlgorithmE1EdEvPT3_S3_: ; @_Z16warp_load_kernelILj256ELj64ELj64ELN6hipcub17WarpLoadAlgorithmE1EdEvPT3_S3_
; %bb.0:
	s_load_dwordx4 s[4:7], s[0:1], 0x0
	v_lshlrev_b32_e32 v2, 6, v0
	v_mbcnt_lo_u32_b32 v1, -1, 0
	s_lshl_b32 s0, s2, 14
	v_and_b32_e32 v2, 0x3000, v2
	s_waitcnt lgkmcnt(0)
	v_mov_b32_e32 v4, s4
	v_mov_b32_e32 v5, s5
	v_mbcnt_hi_u32_b32 v1, -1, v1
	v_or_b32_e32 v2, s0, v2
	v_mov_b32_e32 v3, 0
	v_lshl_add_u64 v[4:5], v[2:3], 3, v[4:5]
	v_lshlrev_b32_e32 v2, 3, v1
	v_lshlrev_b32_e32 v1, 9, v1
	v_lshl_add_u64 v[4:5], v[4:5], 0, v[2:3]
	v_and_b32_e32 v2, 0x8000, v1
	v_lshl_add_u64 v[4:5], v[4:5], 0, v[2:3]
	global_load_dwordx2 v[36:37], v[4:5], off
	global_load_dwordx2 v[38:39], v[4:5], off offset:512
	global_load_dwordx2 v[40:41], v[4:5], off offset:1024
	;; [unrolled: 1-line block ×7, first 2 shown]
	s_movk_i32 s2, 0x1000
	v_add_co_u32_e32 v6, vcc, s2, v4
	s_movk_i32 s2, 0x2000
	s_nop 0
	v_addc_co_u32_e32 v7, vcc, 0, v5, vcc
	v_add_co_u32_e32 v8, vcc, s2, v4
	s_movk_i32 s1, 0x3000
	s_nop 0
	v_addc_co_u32_e32 v9, vcc, 0, v5, vcc
	;; [unrolled: 4-line block ×3, first 2 shown]
	v_add_co_u32_e32 v10, vcc, s1, v4
	global_load_dwordx2 v[52:53], v[8:9], off offset:-4096
	global_load_dwordx2 v[54:55], v[8:9], off
	global_load_dwordx2 v[56:57], v[8:9], off offset:512
	global_load_dwordx2 v[58:59], v[8:9], off offset:1024
	;; [unrolled: 1-line block ×5, first 2 shown]
	v_addc_co_u32_e32 v11, vcc, 0, v5, vcc
	global_load_dwordx2 v[66:67], v[8:9], off offset:3072
	global_load_dwordx2 v[68:69], v[8:9], off offset:3584
	global_load_dwordx2 v[70:71], v[10:11], off offset:-4096
	global_load_dwordx2 v[30:31], v[10:11], off
	global_load_dwordx2 v[76:77], v[6:7], off offset:512
	s_movk_i32 s1, 0x5000
	v_add_co_u32_e32 v72, vcc, s1, v4
	s_movk_i32 s1, 0x6000
	s_nop 0
	v_addc_co_u32_e32 v73, vcc, 0, v5, vcc
	v_add_co_u32_e32 v8, vcc, s1, v4
	s_movk_i32 s1, 0x7000
	s_nop 0
	v_addc_co_u32_e32 v9, vcc, 0, v5, vcc
	v_add_co_u32_e32 v74, vcc, s1, v4
	v_or_b32_e32 v2, s0, v0
	s_nop 0
	v_addc_co_u32_e32 v75, vcc, 0, v5, vcc
	global_load_dwordx2 v[78:79], v[6:7], off offset:1024
	global_load_dwordx2 v[80:81], v[10:11], off offset:512
	;; [unrolled: 1-line block ×9, first 2 shown]
	global_load_dwordx2 v[96:97], v[8:9], off offset:-4096
	global_load_dwordx2 v[98:99], v[6:7], off offset:2048
	global_load_dwordx2 v[100:101], v[6:7], off offset:2560
	global_load_dwordx2 v[34:35], v[8:9], off
	global_load_dwordx2 v[32:33], v[8:9], off offset:512
	global_load_dwordx2 v[28:29], v[8:9], off offset:1024
                                        ; kill: killed $vgpr10 killed $vgpr11
	global_load_dwordx2 v[24:25], v[8:9], off offset:1536
	global_load_dwordx2 v[102:103], v[6:7], off offset:3072
	;; [unrolled: 1-line block ×15, first 2 shown]
                                        ; kill: killed $vgpr8 killed $vgpr9
                                        ; kill: killed $vgpr6 killed $vgpr7
                                        ; kill: killed $vgpr12 killed $vgpr13
	global_load_dwordx2 v[122:123], v[72:73], off offset:1024
	global_load_dwordx2 v[124:125], v[72:73], off offset:1536
	global_load_dwordx2 v[126:127], v[72:73], off offset:2048
	global_load_dwordx2 v[128:129], v[72:73], off offset:2560
	global_load_dwordx2 v[130:131], v[72:73], off offset:3072
	global_load_dwordx2 v[132:133], v[72:73], off offset:3584
	global_load_dwordx2 v[26:27], v[74:75], off
	global_load_dwordx2 v[20:21], v[74:75], off offset:512
	global_load_dwordx2 v[16:17], v[74:75], off offset:1024
	;; [unrolled: 1-line block ×4, first 2 shown]
                                        ; kill: killed $vgpr72 killed $vgpr73
	global_load_dwordx2 v[6:7], v[74:75], off offset:2560
	global_load_dwordx2 v[4:5], v[74:75], off offset:3072
	;; [unrolled: 1-line block ×3, first 2 shown]
	v_lshl_add_u64 v[72:73], v[2:3], 3, s[6:7]
	s_waitcnt vmcnt(62)
	global_store_dwordx2 v[72:73], v[36:37], off
	global_store_dwordx2 v[72:73], v[38:39], off offset:2048
	v_or_b32_e32 v36, 0x200, v2
	v_mov_b32_e32 v37, v3
	v_lshl_add_u64 v[36:37], v[36:37], 3, s[6:7]
	s_waitcnt vmcnt(62)
	global_store_dwordx2 v[36:37], v[40:41], off
	v_or_b32_e32 v36, 0x300, v2
	v_mov_b32_e32 v37, v3
	v_lshl_add_u64 v[36:37], v[36:37], 3, s[6:7]
	global_store_dwordx2 v[36:37], v[42:43], off
	v_or_b32_e32 v36, 0x400, v2
	v_mov_b32_e32 v37, v3
	v_lshl_add_u64 v[36:37], v[36:37], 3, s[6:7]
	s_waitcnt vmcnt(62)
	global_store_dwordx2 v[36:37], v[44:45], off
	v_or_b32_e32 v36, 0x500, v2
	v_mov_b32_e32 v37, v3
	v_lshl_add_u64 v[36:37], v[36:37], 3, s[6:7]
	global_store_dwordx2 v[36:37], v[46:47], off
	;; [unrolled: 9-line block ×3, first 2 shown]
	v_or_b32_e32 v36, 0x800, v2
	v_mov_b32_e32 v37, v3
	v_lshl_add_u64 v[36:37], v[36:37], 3, s[6:7]
	s_waitcnt vmcnt(62)
	global_store_dwordx2 v[36:37], v[52:53], off
	v_or_b32_e32 v36, 0x900, v2
	v_mov_b32_e32 v37, v3
	v_lshl_add_u64 v[36:37], v[36:37], 3, s[6:7]
	s_waitcnt vmcnt(53)
	global_store_dwordx2 v[36:37], v[76:77], off
	;; [unrolled: 5-line block ×8, first 2 shown]
	v_or_b32_e32 v36, 0x1000, v2
	v_mov_b32_e32 v37, v3
	v_lshl_add_u64 v[36:37], v[36:37], 3, s[6:7]
	global_store_dwordx2 v[36:37], v[54:55], off
	v_or_b32_e32 v36, 0x1100, v2
	v_mov_b32_e32 v37, v3
	v_lshl_add_u64 v[36:37], v[36:37], 3, s[6:7]
	global_store_dwordx2 v[36:37], v[56:57], off
	;; [unrolled: 4-line block ×9, first 2 shown]
	v_or_b32_e32 v36, 0x1900, v2
	v_mov_b32_e32 v37, v3
	v_lshl_add_u64 v[36:37], v[36:37], 3, s[6:7]
	s_waitcnt vmcnt(46)
	global_store_dwordx2 v[36:37], v[106:107], off
	v_or_b32_e32 v36, 0x1a00, v2
	v_mov_b32_e32 v37, v3
	v_lshl_add_u64 v[36:37], v[36:37], 3, s[6:7]
	s_waitcnt vmcnt(46)
	global_store_dwordx2 v[36:37], v[108:109], off
	;; [unrolled: 5-line block ×7, first 2 shown]
	v_or_b32_e32 v36, 0x2000, v2
	v_mov_b32_e32 v37, v3
	v_lshl_add_u64 v[36:37], v[36:37], 3, s[6:7]
	global_store_dwordx2 v[36:37], v[30:31], off
	v_or_b32_e32 v30, 0x2100, v2
	v_mov_b32_e32 v31, v3
	v_lshl_add_u64 v[30:31], v[30:31], 3, s[6:7]
	global_store_dwordx2 v[30:31], v[80:81], off
	;; [unrolled: 4-line block ×9, first 2 shown]
	v_or_b32_e32 v30, 0x2900, v2
	v_mov_b32_e32 v31, v3
	v_lshl_add_u64 v[30:31], v[30:31], 3, s[6:7]
	s_waitcnt vmcnt(55)
	global_store_dwordx2 v[30:31], v[120:121], off
	v_or_b32_e32 v30, 0x2a00, v2
	v_mov_b32_e32 v31, v3
	v_lshl_add_u64 v[30:31], v[30:31], 3, s[6:7]
	s_waitcnt vmcnt(55)
	global_store_dwordx2 v[30:31], v[122:123], off
	;; [unrolled: 5-line block ×7, first 2 shown]
	v_or_b32_e32 v30, 0x3000, v2
	v_mov_b32_e32 v31, v3
	v_lshl_add_u64 v[30:31], v[30:31], 3, s[6:7]
	global_store_dwordx2 v[30:31], v[34:35], off
	v_or_b32_e32 v30, 0x3100, v2
	v_mov_b32_e32 v31, v3
	v_lshl_add_u64 v[30:31], v[30:31], 3, s[6:7]
	global_store_dwordx2 v[30:31], v[32:33], off
	;; [unrolled: 4-line block ×8, first 2 shown]
	v_or_b32_e32 v10, 0x3800, v2
	v_mov_b32_e32 v11, v3
	v_lshl_add_u64 v[10:11], v[10:11], 3, s[6:7]
	s_waitcnt vmcnt(62)
	global_store_dwordx2 v[10:11], v[26:27], off
	v_or_b32_e32 v10, 0x3900, v2
	v_mov_b32_e32 v11, v3
	v_lshl_add_u64 v[10:11], v[10:11], 3, s[6:7]
	global_store_dwordx2 v[10:11], v[20:21], off
	v_or_b32_e32 v10, 0x3a00, v2
	v_mov_b32_e32 v11, v3
	v_lshl_add_u64 v[10:11], v[10:11], 3, s[6:7]
	s_waitcnt vmcnt(62)
	global_store_dwordx2 v[10:11], v[16:17], off
	v_or_b32_e32 v10, 0x3b00, v2
	v_mov_b32_e32 v11, v3
	v_lshl_add_u64 v[10:11], v[10:11], 3, s[6:7]
	global_store_dwordx2 v[10:11], v[12:13], off
	;; [unrolled: 9-line block ×3, first 2 shown]
	v_or_b32_e32 v6, 0x3e00, v2
	v_mov_b32_e32 v7, v3
	v_or_b32_e32 v2, 0x3f00, v2
	v_lshl_add_u64 v[6:7], v[6:7], 3, s[6:7]
	v_lshl_add_u64 v[2:3], v[2:3], 3, s[6:7]
	s_waitcnt vmcnt(62)
	global_store_dwordx2 v[6:7], v[4:5], off
	global_store_dwordx2 v[2:3], v[0:1], off
	s_endpgm
	.section	.rodata,"a",@progbits
	.p2align	6, 0x0
	.amdhsa_kernel _Z16warp_load_kernelILj256ELj64ELj64ELN6hipcub17WarpLoadAlgorithmE1EdEvPT3_S3_
		.amdhsa_group_segment_fixed_size 0
		.amdhsa_private_segment_fixed_size 0
		.amdhsa_kernarg_size 16
		.amdhsa_user_sgpr_count 2
		.amdhsa_user_sgpr_dispatch_ptr 0
		.amdhsa_user_sgpr_queue_ptr 0
		.amdhsa_user_sgpr_kernarg_segment_ptr 1
		.amdhsa_user_sgpr_dispatch_id 0
		.amdhsa_user_sgpr_kernarg_preload_length 0
		.amdhsa_user_sgpr_kernarg_preload_offset 0
		.amdhsa_user_sgpr_private_segment_size 0
		.amdhsa_uses_dynamic_stack 0
		.amdhsa_enable_private_segment 0
		.amdhsa_system_sgpr_workgroup_id_x 1
		.amdhsa_system_sgpr_workgroup_id_y 0
		.amdhsa_system_sgpr_workgroup_id_z 0
		.amdhsa_system_sgpr_workgroup_info 0
		.amdhsa_system_vgpr_workitem_id 0
		.amdhsa_next_free_vgpr 134
		.amdhsa_next_free_sgpr 8
		.amdhsa_accum_offset 136
		.amdhsa_reserve_vcc 1
		.amdhsa_float_round_mode_32 0
		.amdhsa_float_round_mode_16_64 0
		.amdhsa_float_denorm_mode_32 3
		.amdhsa_float_denorm_mode_16_64 3
		.amdhsa_dx10_clamp 1
		.amdhsa_ieee_mode 1
		.amdhsa_fp16_overflow 0
		.amdhsa_tg_split 0
		.amdhsa_exception_fp_ieee_invalid_op 0
		.amdhsa_exception_fp_denorm_src 0
		.amdhsa_exception_fp_ieee_div_zero 0
		.amdhsa_exception_fp_ieee_overflow 0
		.amdhsa_exception_fp_ieee_underflow 0
		.amdhsa_exception_fp_ieee_inexact 0
		.amdhsa_exception_int_div_zero 0
	.end_amdhsa_kernel
	.section	.text._Z16warp_load_kernelILj256ELj64ELj64ELN6hipcub17WarpLoadAlgorithmE1EdEvPT3_S3_,"axG",@progbits,_Z16warp_load_kernelILj256ELj64ELj64ELN6hipcub17WarpLoadAlgorithmE1EdEvPT3_S3_,comdat
.Lfunc_end71:
	.size	_Z16warp_load_kernelILj256ELj64ELj64ELN6hipcub17WarpLoadAlgorithmE1EdEvPT3_S3_, .Lfunc_end71-_Z16warp_load_kernelILj256ELj64ELj64ELN6hipcub17WarpLoadAlgorithmE1EdEvPT3_S3_
                                        ; -- End function
	.section	.AMDGPU.csdata,"",@progbits
; Kernel info:
; codeLenInByte = 2604
; NumSgprs: 14
; NumVgprs: 134
; NumAgprs: 0
; TotalNumVgprs: 134
; ScratchSize: 0
; MemoryBound: 1
; FloatMode: 240
; IeeeMode: 1
; LDSByteSize: 0 bytes/workgroup (compile time only)
; SGPRBlocks: 1
; VGPRBlocks: 16
; NumSGPRsForWavesPerEU: 14
; NumVGPRsForWavesPerEU: 134
; AccumOffset: 136
; Occupancy: 3
; WaveLimiterHint : 1
; COMPUTE_PGM_RSRC2:SCRATCH_EN: 0
; COMPUTE_PGM_RSRC2:USER_SGPR: 2
; COMPUTE_PGM_RSRC2:TRAP_HANDLER: 0
; COMPUTE_PGM_RSRC2:TGID_X_EN: 1
; COMPUTE_PGM_RSRC2:TGID_Y_EN: 0
; COMPUTE_PGM_RSRC2:TGID_Z_EN: 0
; COMPUTE_PGM_RSRC2:TIDIG_COMP_CNT: 0
; COMPUTE_PGM_RSRC3_GFX90A:ACCUM_OFFSET: 33
; COMPUTE_PGM_RSRC3_GFX90A:TG_SPLIT: 0
	.section	.text._Z16warp_load_kernelILj256ELj64ELj64ELN6hipcub17WarpLoadAlgorithmE2EdEvPT3_S3_,"axG",@progbits,_Z16warp_load_kernelILj256ELj64ELj64ELN6hipcub17WarpLoadAlgorithmE2EdEvPT3_S3_,comdat
	.protected	_Z16warp_load_kernelILj256ELj64ELj64ELN6hipcub17WarpLoadAlgorithmE2EdEvPT3_S3_ ; -- Begin function _Z16warp_load_kernelILj256ELj64ELj64ELN6hipcub17WarpLoadAlgorithmE2EdEvPT3_S3_
	.globl	_Z16warp_load_kernelILj256ELj64ELj64ELN6hipcub17WarpLoadAlgorithmE2EdEvPT3_S3_
	.p2align	8
	.type	_Z16warp_load_kernelILj256ELj64ELj64ELN6hipcub17WarpLoadAlgorithmE2EdEvPT3_S3_,@function
_Z16warp_load_kernelILj256ELj64ELj64ELN6hipcub17WarpLoadAlgorithmE2EdEvPT3_S3_: ; @_Z16warp_load_kernelILj256ELj64ELj64ELN6hipcub17WarpLoadAlgorithmE2EdEvPT3_S3_
; %bb.0:
	s_load_dwordx4 s[4:7], s[0:1], 0x0
	v_lshlrev_b32_e32 v2, 6, v0
	v_mbcnt_lo_u32_b32 v1, -1, 0
	s_lshl_b32 s0, s2, 14
	v_and_b32_e32 v2, 0x3000, v2
	s_waitcnt lgkmcnt(0)
	v_mov_b32_e32 v4, s4
	v_mov_b32_e32 v5, s5
	v_mbcnt_hi_u32_b32 v1, -1, v1
	v_or_b32_e32 v2, s0, v2
	v_mov_b32_e32 v3, 0
	v_lshl_add_u64 v[4:5], v[2:3], 3, v[4:5]
	v_lshlrev_b32_e32 v2, 9, v1
	v_lshl_add_u64 v[4:5], v[4:5], 0, v[2:3]
	global_load_dwordx4 v[6:9], v[4:5], off
	global_load_dwordx4 v[10:13], v[4:5], off offset:16
	global_load_dwordx4 v[14:17], v[4:5], off offset:32
	;; [unrolled: 1-line block ×31, first 2 shown]
	v_or_b32_e32 v2, s0, v0
	v_mov_b32_e32 v1, v3
	v_or_b32_e32 v0, 0x200, v2
	v_mov_b32_e32 v135, v3
	v_mov_b32_e32 v137, v3
	;; [unrolled: 1-line block ×9, first 2 shown]
	v_lshl_add_u64 v[4:5], v[2:3], 3, s[6:7]
	v_or_b32_e32 v134, 0x300, v2
	v_or_b32_e32 v136, 0x400, v2
	;; [unrolled: 1-line block ×9, first 2 shown]
	v_lshl_add_u64 v[0:1], v[0:1], 3, s[6:7]
	v_lshl_add_u64 v[134:135], v[134:135], 3, s[6:7]
	;; [unrolled: 1-line block ×9, first 2 shown]
	s_waitcnt vmcnt(31)
	global_store_dwordx2 v[4:5], v[6:7], off
	global_store_dwordx2 v[4:5], v[8:9], off offset:2048
	s_waitcnt vmcnt(32)
	global_store_dwordx2 v[0:1], v[10:11], off
	global_store_dwordx2 v[134:135], v[12:13], off
	s_waitcnt vmcnt(33)
	global_store_dwordx2 v[136:137], v[14:15], off
	global_store_dwordx2 v[138:139], v[16:17], off
	;; [unrolled: 3-line block ×4, first 2 shown]
	s_waitcnt vmcnt(36)
	global_store_dwordx2 v[148:149], v[26:27], off
	v_lshl_add_u64 v[0:1], v[150:151], 3, s[6:7]
	global_store_dwordx2 v[0:1], v[28:29], off
	v_or_b32_e32 v0, 0xc00, v2
	v_mov_b32_e32 v1, v3
	v_lshl_add_u64 v[0:1], v[0:1], 3, s[6:7]
	s_waitcnt vmcnt(37)
	global_store_dwordx2 v[0:1], v[30:31], off
	v_or_b32_e32 v0, 0xd00, v2
	v_mov_b32_e32 v1, v3
	v_lshl_add_u64 v[0:1], v[0:1], 3, s[6:7]
	global_store_dwordx2 v[0:1], v[32:33], off
	v_or_b32_e32 v0, 0xe00, v2
	v_mov_b32_e32 v1, v3
	v_lshl_add_u64 v[0:1], v[0:1], 3, s[6:7]
	s_waitcnt vmcnt(38)
	global_store_dwordx2 v[0:1], v[34:35], off
	v_or_b32_e32 v0, 0xf00, v2
	v_mov_b32_e32 v1, v3
	;; [unrolled: 9-line block ×3, first 2 shown]
	v_lshl_add_u64 v[0:1], v[0:1], 3, s[6:7]
	global_store_dwordx2 v[0:1], v[44:45], off
	v_or_b32_e32 v0, 0x1200, v2
	v_mov_b32_e32 v1, v3
	v_lshl_add_u64 v[0:1], v[0:1], 3, s[6:7]
	global_store_dwordx2 v[0:1], v[38:39], off
	v_or_b32_e32 v0, 0x1300, v2
	v_mov_b32_e32 v1, v3
	;; [unrolled: 4-line block ×3, first 2 shown]
	v_lshl_add_u64 v[0:1], v[0:1], 3, s[6:7]
	s_waitcnt vmcnt(40)
	global_store_dwordx2 v[0:1], v[50:51], off
	v_or_b32_e32 v0, 0x1500, v2
	v_mov_b32_e32 v1, v3
	v_lshl_add_u64 v[0:1], v[0:1], 3, s[6:7]
	global_store_dwordx2 v[0:1], v[52:53], off
	v_or_b32_e32 v0, 0x1600, v2
	v_mov_b32_e32 v1, v3
	v_lshl_add_u64 v[0:1], v[0:1], 3, s[6:7]
	global_store_dwordx2 v[0:1], v[46:47], off
	v_or_b32_e32 v0, 0x1700, v2
	v_mov_b32_e32 v1, v3
	v_lshl_add_u64 v[0:1], v[0:1], 3, s[6:7]
	global_store_dwordx2 v[0:1], v[48:49], off
	v_or_b32_e32 v0, 0x1800, v2
	v_mov_b32_e32 v1, v3
	v_lshl_add_u64 v[0:1], v[0:1], 3, s[6:7]
	s_waitcnt vmcnt(40)
	global_store_dwordx2 v[0:1], v[66:67], off
	v_or_b32_e32 v0, 0x1900, v2
	v_mov_b32_e32 v1, v3
	v_lshl_add_u64 v[0:1], v[0:1], 3, s[6:7]
	global_store_dwordx2 v[0:1], v[68:69], off
	v_or_b32_e32 v0, 0x1a00, v2
	v_mov_b32_e32 v1, v3
	v_lshl_add_u64 v[0:1], v[0:1], 3, s[6:7]
	global_store_dwordx2 v[0:1], v[62:63], off
	v_or_b32_e32 v0, 0x1b00, v2
	v_mov_b32_e32 v1, v3
	v_lshl_add_u64 v[0:1], v[0:1], 3, s[6:7]
	global_store_dwordx2 v[0:1], v[64:65], off
	v_or_b32_e32 v0, 0x1c00, v2
	v_mov_b32_e32 v1, v3
	v_lshl_add_u64 v[0:1], v[0:1], 3, s[6:7]
	global_store_dwordx2 v[0:1], v[58:59], off
	v_or_b32_e32 v0, 0x1d00, v2
	v_mov_b32_e32 v1, v3
	v_lshl_add_u64 v[0:1], v[0:1], 3, s[6:7]
	global_store_dwordx2 v[0:1], v[60:61], off
	v_or_b32_e32 v0, 0x1e00, v2
	v_mov_b32_e32 v1, v3
	v_lshl_add_u64 v[0:1], v[0:1], 3, s[6:7]
	global_store_dwordx2 v[0:1], v[54:55], off
	v_or_b32_e32 v0, 0x1f00, v2
	v_mov_b32_e32 v1, v3
	v_lshl_add_u64 v[0:1], v[0:1], 3, s[6:7]
	global_store_dwordx2 v[0:1], v[56:57], off
	v_or_b32_e32 v0, 0x2000, v2
	v_mov_b32_e32 v1, v3
	v_lshl_add_u64 v[0:1], v[0:1], 3, s[6:7]
	s_waitcnt vmcnt(44)
	global_store_dwordx2 v[0:1], v[82:83], off
	v_or_b32_e32 v0, 0x2100, v2
	v_mov_b32_e32 v1, v3
	v_lshl_add_u64 v[0:1], v[0:1], 3, s[6:7]
	global_store_dwordx2 v[0:1], v[84:85], off
	v_or_b32_e32 v0, 0x2200, v2
	v_mov_b32_e32 v1, v3
	v_lshl_add_u64 v[0:1], v[0:1], 3, s[6:7]
	global_store_dwordx2 v[0:1], v[78:79], off
	v_or_b32_e32 v0, 0x2300, v2
	v_mov_b32_e32 v1, v3
	v_lshl_add_u64 v[0:1], v[0:1], 3, s[6:7]
	global_store_dwordx2 v[0:1], v[80:81], off
	v_or_b32_e32 v0, 0x2400, v2
	v_mov_b32_e32 v1, v3
	v_lshl_add_u64 v[0:1], v[0:1], 3, s[6:7]
	;; [unrolled: 33-line block ×5, first 2 shown]
	global_store_dwordx2 v[0:1], v[122:123], off
	v_or_b32_e32 v0, 0x3d00, v2
	v_mov_b32_e32 v1, v3
	v_lshl_add_u64 v[0:1], v[0:1], 3, s[6:7]
	global_store_dwordx2 v[0:1], v[124:125], off
	v_or_b32_e32 v0, 0x3e00, v2
	v_mov_b32_e32 v1, v3
	v_lshl_add_u64 v[0:1], v[0:1], 3, s[6:7]
	v_or_b32_e32 v2, 0x3f00, v2
	global_store_dwordx2 v[0:1], v[118:119], off
	v_lshl_add_u64 v[0:1], v[2:3], 3, s[6:7]
	global_store_dwordx2 v[0:1], v[120:121], off
	s_endpgm
	.section	.rodata,"a",@progbits
	.p2align	6, 0x0
	.amdhsa_kernel _Z16warp_load_kernelILj256ELj64ELj64ELN6hipcub17WarpLoadAlgorithmE2EdEvPT3_S3_
		.amdhsa_group_segment_fixed_size 0
		.amdhsa_private_segment_fixed_size 0
		.amdhsa_kernarg_size 16
		.amdhsa_user_sgpr_count 2
		.amdhsa_user_sgpr_dispatch_ptr 0
		.amdhsa_user_sgpr_queue_ptr 0
		.amdhsa_user_sgpr_kernarg_segment_ptr 1
		.amdhsa_user_sgpr_dispatch_id 0
		.amdhsa_user_sgpr_kernarg_preload_length 0
		.amdhsa_user_sgpr_kernarg_preload_offset 0
		.amdhsa_user_sgpr_private_segment_size 0
		.amdhsa_uses_dynamic_stack 0
		.amdhsa_enable_private_segment 0
		.amdhsa_system_sgpr_workgroup_id_x 1
		.amdhsa_system_sgpr_workgroup_id_y 0
		.amdhsa_system_sgpr_workgroup_id_z 0
		.amdhsa_system_sgpr_workgroup_info 0
		.amdhsa_system_vgpr_workitem_id 0
		.amdhsa_next_free_vgpr 152
		.amdhsa_next_free_sgpr 8
		.amdhsa_accum_offset 152
		.amdhsa_reserve_vcc 0
		.amdhsa_float_round_mode_32 0
		.amdhsa_float_round_mode_16_64 0
		.amdhsa_float_denorm_mode_32 3
		.amdhsa_float_denorm_mode_16_64 3
		.amdhsa_dx10_clamp 1
		.amdhsa_ieee_mode 1
		.amdhsa_fp16_overflow 0
		.amdhsa_tg_split 0
		.amdhsa_exception_fp_ieee_invalid_op 0
		.amdhsa_exception_fp_denorm_src 0
		.amdhsa_exception_fp_ieee_div_zero 0
		.amdhsa_exception_fp_ieee_overflow 0
		.amdhsa_exception_fp_ieee_underflow 0
		.amdhsa_exception_fp_ieee_inexact 0
		.amdhsa_exception_int_div_zero 0
	.end_amdhsa_kernel
	.section	.text._Z16warp_load_kernelILj256ELj64ELj64ELN6hipcub17WarpLoadAlgorithmE2EdEvPT3_S3_,"axG",@progbits,_Z16warp_load_kernelILj256ELj64ELj64ELN6hipcub17WarpLoadAlgorithmE2EdEvPT3_S3_,comdat
.Lfunc_end72:
	.size	_Z16warp_load_kernelILj256ELj64ELj64ELN6hipcub17WarpLoadAlgorithmE2EdEvPT3_S3_, .Lfunc_end72-_Z16warp_load_kernelILj256ELj64ELj64ELN6hipcub17WarpLoadAlgorithmE2EdEvPT3_S3_
                                        ; -- End function
	.section	.AMDGPU.csdata,"",@progbits
; Kernel info:
; codeLenInByte = 2160
; NumSgprs: 14
; NumVgprs: 152
; NumAgprs: 0
; TotalNumVgprs: 152
; ScratchSize: 0
; MemoryBound: 1
; FloatMode: 240
; IeeeMode: 1
; LDSByteSize: 0 bytes/workgroup (compile time only)
; SGPRBlocks: 1
; VGPRBlocks: 18
; NumSGPRsForWavesPerEU: 14
; NumVGPRsForWavesPerEU: 152
; AccumOffset: 152
; Occupancy: 3
; WaveLimiterHint : 1
; COMPUTE_PGM_RSRC2:SCRATCH_EN: 0
; COMPUTE_PGM_RSRC2:USER_SGPR: 2
; COMPUTE_PGM_RSRC2:TRAP_HANDLER: 0
; COMPUTE_PGM_RSRC2:TGID_X_EN: 1
; COMPUTE_PGM_RSRC2:TGID_Y_EN: 0
; COMPUTE_PGM_RSRC2:TGID_Z_EN: 0
; COMPUTE_PGM_RSRC2:TIDIG_COMP_CNT: 0
; COMPUTE_PGM_RSRC3_GFX90A:ACCUM_OFFSET: 37
; COMPUTE_PGM_RSRC3_GFX90A:TG_SPLIT: 0
	.text
	.p2alignl 6, 3212836864
	.fill 256, 4, 3212836864
	.type	__hip_cuid_9ce7e4b30d77fb7a,@object ; @__hip_cuid_9ce7e4b30d77fb7a
	.section	.bss,"aw",@nobits
	.globl	__hip_cuid_9ce7e4b30d77fb7a
__hip_cuid_9ce7e4b30d77fb7a:
	.byte	0                               ; 0x0
	.size	__hip_cuid_9ce7e4b30d77fb7a, 1

	.ident	"AMD clang version 19.0.0git (https://github.com/RadeonOpenCompute/llvm-project roc-6.4.0 25133 c7fe45cf4b819c5991fe208aaa96edf142730f1d)"
	.section	".note.GNU-stack","",@progbits
	.addrsig
	.addrsig_sym __hip_cuid_9ce7e4b30d77fb7a
	.amdgpu_metadata
---
amdhsa.kernels:
  - .agpr_count:     0
    .args:
      - .address_space:  global
        .offset:         0
        .size:           8
        .value_kind:     global_buffer
      - .address_space:  global
        .offset:         8
        .size:           8
        .value_kind:     global_buffer
    .group_segment_fixed_size: 0
    .kernarg_segment_align: 8
    .kernarg_segment_size: 16
    .language:       OpenCL C
    .language_version:
      - 2
      - 0
    .max_flat_workgroup_size: 256
    .name:           _Z16warp_load_kernelILj256ELj4ELj32ELN6hipcub17WarpLoadAlgorithmE0EiEvPT3_S3_
    .private_segment_fixed_size: 0
    .sgpr_count:     14
    .sgpr_spill_count: 0
    .symbol:         _Z16warp_load_kernelILj256ELj4ELj32ELN6hipcub17WarpLoadAlgorithmE0EiEvPT3_S3_.kd
    .uniform_work_group_size: 1
    .uses_dynamic_stack: false
    .vgpr_count:     12
    .vgpr_spill_count: 0
    .wavefront_size: 64
  - .agpr_count:     0
    .args:
      - .address_space:  global
        .offset:         0
        .size:           8
        .value_kind:     global_buffer
      - .address_space:  global
        .offset:         8
        .size:           8
        .value_kind:     global_buffer
    .group_segment_fixed_size: 0
    .kernarg_segment_align: 8
    .kernarg_segment_size: 16
    .language:       OpenCL C
    .language_version:
      - 2
      - 0
    .max_flat_workgroup_size: 256
    .name:           _Z16warp_load_kernelILj256ELj4ELj32ELN6hipcub17WarpLoadAlgorithmE1EiEvPT3_S3_
    .private_segment_fixed_size: 0
    .sgpr_count:     14
    .sgpr_spill_count: 0
    .symbol:         _Z16warp_load_kernelILj256ELj4ELj32ELN6hipcub17WarpLoadAlgorithmE1EiEvPT3_S3_.kd
    .uniform_work_group_size: 1
    .uses_dynamic_stack: false
    .vgpr_count:     12
    .vgpr_spill_count: 0
    .wavefront_size: 64
  - .agpr_count:     0
    .args:
      - .address_space:  global
        .offset:         0
        .size:           8
        .value_kind:     global_buffer
      - .address_space:  global
        .offset:         8
        .size:           8
        .value_kind:     global_buffer
    .group_segment_fixed_size: 0
    .kernarg_segment_align: 8
    .kernarg_segment_size: 16
    .language:       OpenCL C
    .language_version:
      - 2
      - 0
    .max_flat_workgroup_size: 256
    .name:           _Z16warp_load_kernelILj256ELj4ELj32ELN6hipcub17WarpLoadAlgorithmE2EiEvPT3_S3_
    .private_segment_fixed_size: 0
    .sgpr_count:     14
    .sgpr_spill_count: 0
    .symbol:         _Z16warp_load_kernelILj256ELj4ELj32ELN6hipcub17WarpLoadAlgorithmE2EiEvPT3_S3_.kd
    .uniform_work_group_size: 1
    .uses_dynamic_stack: false
    .vgpr_count:     12
    .vgpr_spill_count: 0
    .wavefront_size: 64
  - .agpr_count:     0
    .args:
      - .address_space:  global
        .offset:         0
        .size:           8
        .value_kind:     global_buffer
      - .address_space:  global
        .offset:         8
        .size:           8
        .value_kind:     global_buffer
    .group_segment_fixed_size: 4096
    .kernarg_segment_align: 8
    .kernarg_segment_size: 16
    .language:       OpenCL C
    .language_version:
      - 2
      - 0
    .max_flat_workgroup_size: 256
    .name:           _Z16warp_load_kernelILj256ELj4ELj32ELN6hipcub17WarpLoadAlgorithmE3EiEvPT3_S3_
    .private_segment_fixed_size: 0
    .sgpr_count:     14
    .sgpr_spill_count: 0
    .symbol:         _Z16warp_load_kernelILj256ELj4ELj32ELN6hipcub17WarpLoadAlgorithmE3EiEvPT3_S3_.kd
    .uniform_work_group_size: 1
    .uses_dynamic_stack: false
    .vgpr_count:     16
    .vgpr_spill_count: 0
    .wavefront_size: 64
  - .agpr_count:     0
    .args:
      - .address_space:  global
        .offset:         0
        .size:           8
        .value_kind:     global_buffer
      - .address_space:  global
        .offset:         8
        .size:           8
        .value_kind:     global_buffer
    .group_segment_fixed_size: 0
    .kernarg_segment_align: 8
    .kernarg_segment_size: 16
    .language:       OpenCL C
    .language_version:
      - 2
      - 0
    .max_flat_workgroup_size: 256
    .name:           _Z16warp_load_kernelILj256ELj8ELj32ELN6hipcub17WarpLoadAlgorithmE0EiEvPT3_S3_
    .private_segment_fixed_size: 0
    .sgpr_count:     14
    .sgpr_spill_count: 0
    .symbol:         _Z16warp_load_kernelILj256ELj8ELj32ELN6hipcub17WarpLoadAlgorithmE0EiEvPT3_S3_.kd
    .uniform_work_group_size: 1
    .uses_dynamic_stack: false
    .vgpr_count:     18
    .vgpr_spill_count: 0
    .wavefront_size: 64
  - .agpr_count:     0
    .args:
      - .address_space:  global
        .offset:         0
        .size:           8
        .value_kind:     global_buffer
      - .address_space:  global
        .offset:         8
        .size:           8
        .value_kind:     global_buffer
    .group_segment_fixed_size: 0
    .kernarg_segment_align: 8
    .kernarg_segment_size: 16
    .language:       OpenCL C
    .language_version:
      - 2
      - 0
    .max_flat_workgroup_size: 256
    .name:           _Z16warp_load_kernelILj256ELj8ELj32ELN6hipcub17WarpLoadAlgorithmE1EiEvPT3_S3_
    .private_segment_fixed_size: 0
    .sgpr_count:     14
    .sgpr_spill_count: 0
    .symbol:         _Z16warp_load_kernelILj256ELj8ELj32ELN6hipcub17WarpLoadAlgorithmE1EiEvPT3_S3_.kd
    .uniform_work_group_size: 1
    .uses_dynamic_stack: false
    .vgpr_count:     18
    .vgpr_spill_count: 0
    .wavefront_size: 64
  - .agpr_count:     0
    .args:
      - .address_space:  global
        .offset:         0
        .size:           8
        .value_kind:     global_buffer
      - .address_space:  global
        .offset:         8
        .size:           8
        .value_kind:     global_buffer
    .group_segment_fixed_size: 0
    .kernarg_segment_align: 8
    .kernarg_segment_size: 16
    .language:       OpenCL C
    .language_version:
      - 2
      - 0
    .max_flat_workgroup_size: 256
    .name:           _Z16warp_load_kernelILj256ELj8ELj32ELN6hipcub17WarpLoadAlgorithmE2EiEvPT3_S3_
    .private_segment_fixed_size: 0
    .sgpr_count:     14
    .sgpr_spill_count: 0
    .symbol:         _Z16warp_load_kernelILj256ELj8ELj32ELN6hipcub17WarpLoadAlgorithmE2EiEvPT3_S3_.kd
    .uniform_work_group_size: 1
    .uses_dynamic_stack: false
    .vgpr_count:     18
    .vgpr_spill_count: 0
    .wavefront_size: 64
  - .agpr_count:     0
    .args:
      - .address_space:  global
        .offset:         0
        .size:           8
        .value_kind:     global_buffer
      - .address_space:  global
        .offset:         8
        .size:           8
        .value_kind:     global_buffer
    .group_segment_fixed_size: 8192
    .kernarg_segment_align: 8
    .kernarg_segment_size: 16
    .language:       OpenCL C
    .language_version:
      - 2
      - 0
    .max_flat_workgroup_size: 256
    .name:           _Z16warp_load_kernelILj256ELj8ELj32ELN6hipcub17WarpLoadAlgorithmE3EiEvPT3_S3_
    .private_segment_fixed_size: 0
    .sgpr_count:     14
    .sgpr_spill_count: 0
    .symbol:         _Z16warp_load_kernelILj256ELj8ELj32ELN6hipcub17WarpLoadAlgorithmE3EiEvPT3_S3_.kd
    .uniform_work_group_size: 1
    .uses_dynamic_stack: false
    .vgpr_count:     23
    .vgpr_spill_count: 0
    .wavefront_size: 64
  - .agpr_count:     0
    .args:
      - .address_space:  global
        .offset:         0
        .size:           8
        .value_kind:     global_buffer
      - .address_space:  global
        .offset:         8
        .size:           8
        .value_kind:     global_buffer
    .group_segment_fixed_size: 0
    .kernarg_segment_align: 8
    .kernarg_segment_size: 16
    .language:       OpenCL C
    .language_version:
      - 2
      - 0
    .max_flat_workgroup_size: 256
    .name:           _Z16warp_load_kernelILj256ELj16ELj32ELN6hipcub17WarpLoadAlgorithmE0EiEvPT3_S3_
    .private_segment_fixed_size: 0
    .sgpr_count:     14
    .sgpr_spill_count: 0
    .symbol:         _Z16warp_load_kernelILj256ELj16ELj32ELN6hipcub17WarpLoadAlgorithmE0EiEvPT3_S3_.kd
    .uniform_work_group_size: 1
    .uses_dynamic_stack: false
    .vgpr_count:     42
    .vgpr_spill_count: 0
    .wavefront_size: 64
  - .agpr_count:     0
    .args:
      - .address_space:  global
        .offset:         0
        .size:           8
        .value_kind:     global_buffer
      - .address_space:  global
        .offset:         8
        .size:           8
        .value_kind:     global_buffer
    .group_segment_fixed_size: 0
    .kernarg_segment_align: 8
    .kernarg_segment_size: 16
    .language:       OpenCL C
    .language_version:
      - 2
      - 0
    .max_flat_workgroup_size: 256
    .name:           _Z16warp_load_kernelILj256ELj16ELj32ELN6hipcub17WarpLoadAlgorithmE1EiEvPT3_S3_
    .private_segment_fixed_size: 0
    .sgpr_count:     14
    .sgpr_spill_count: 0
    .symbol:         _Z16warp_load_kernelILj256ELj16ELj32ELN6hipcub17WarpLoadAlgorithmE1EiEvPT3_S3_.kd
    .uniform_work_group_size: 1
    .uses_dynamic_stack: false
    .vgpr_count:     42
    .vgpr_spill_count: 0
    .wavefront_size: 64
  - .agpr_count:     0
    .args:
      - .address_space:  global
        .offset:         0
        .size:           8
        .value_kind:     global_buffer
      - .address_space:  global
        .offset:         8
        .size:           8
        .value_kind:     global_buffer
    .group_segment_fixed_size: 0
    .kernarg_segment_align: 8
    .kernarg_segment_size: 16
    .language:       OpenCL C
    .language_version:
      - 2
      - 0
    .max_flat_workgroup_size: 256
    .name:           _Z16warp_load_kernelILj256ELj16ELj32ELN6hipcub17WarpLoadAlgorithmE2EiEvPT3_S3_
    .private_segment_fixed_size: 0
    .sgpr_count:     14
    .sgpr_spill_count: 0
    .symbol:         _Z16warp_load_kernelILj256ELj16ELj32ELN6hipcub17WarpLoadAlgorithmE2EiEvPT3_S3_.kd
    .uniform_work_group_size: 1
    .uses_dynamic_stack: false
    .vgpr_count:     42
    .vgpr_spill_count: 0
    .wavefront_size: 64
  - .agpr_count:     0
    .args:
      - .address_space:  global
        .offset:         0
        .size:           8
        .value_kind:     global_buffer
      - .address_space:  global
        .offset:         8
        .size:           8
        .value_kind:     global_buffer
    .group_segment_fixed_size: 16384
    .kernarg_segment_align: 8
    .kernarg_segment_size: 16
    .language:       OpenCL C
    .language_version:
      - 2
      - 0
    .max_flat_workgroup_size: 256
    .name:           _Z16warp_load_kernelILj256ELj16ELj32ELN6hipcub17WarpLoadAlgorithmE3EiEvPT3_S3_
    .private_segment_fixed_size: 0
    .sgpr_count:     14
    .sgpr_spill_count: 0
    .symbol:         _Z16warp_load_kernelILj256ELj16ELj32ELN6hipcub17WarpLoadAlgorithmE3EiEvPT3_S3_.kd
    .uniform_work_group_size: 1
    .uses_dynamic_stack: false
    .vgpr_count:     59
    .vgpr_spill_count: 0
    .wavefront_size: 64
  - .agpr_count:     0
    .args:
      - .address_space:  global
        .offset:         0
        .size:           8
        .value_kind:     global_buffer
      - .address_space:  global
        .offset:         8
        .size:           8
        .value_kind:     global_buffer
    .group_segment_fixed_size: 0
    .kernarg_segment_align: 8
    .kernarg_segment_size: 16
    .language:       OpenCL C
    .language_version:
      - 2
      - 0
    .max_flat_workgroup_size: 256
    .name:           _Z16warp_load_kernelILj256ELj32ELj32ELN6hipcub17WarpLoadAlgorithmE0EiEvPT3_S3_
    .private_segment_fixed_size: 0
    .sgpr_count:     14
    .sgpr_spill_count: 0
    .symbol:         _Z16warp_load_kernelILj256ELj32ELj32ELN6hipcub17WarpLoadAlgorithmE0EiEvPT3_S3_.kd
    .uniform_work_group_size: 1
    .uses_dynamic_stack: false
    .vgpr_count:     60
    .vgpr_spill_count: 0
    .wavefront_size: 64
  - .agpr_count:     0
    .args:
      - .address_space:  global
        .offset:         0
        .size:           8
        .value_kind:     global_buffer
      - .address_space:  global
        .offset:         8
        .size:           8
        .value_kind:     global_buffer
    .group_segment_fixed_size: 0
    .kernarg_segment_align: 8
    .kernarg_segment_size: 16
    .language:       OpenCL C
    .language_version:
      - 2
      - 0
    .max_flat_workgroup_size: 256
    .name:           _Z16warp_load_kernelILj256ELj32ELj32ELN6hipcub17WarpLoadAlgorithmE1EiEvPT3_S3_
    .private_segment_fixed_size: 0
    .sgpr_count:     14
    .sgpr_spill_count: 0
    .symbol:         _Z16warp_load_kernelILj256ELj32ELj32ELN6hipcub17WarpLoadAlgorithmE1EiEvPT3_S3_.kd
    .uniform_work_group_size: 1
    .uses_dynamic_stack: false
    .vgpr_count:     54
    .vgpr_spill_count: 0
    .wavefront_size: 64
  - .agpr_count:     0
    .args:
      - .address_space:  global
        .offset:         0
        .size:           8
        .value_kind:     global_buffer
      - .address_space:  global
        .offset:         8
        .size:           8
        .value_kind:     global_buffer
    .group_segment_fixed_size: 0
    .kernarg_segment_align: 8
    .kernarg_segment_size: 16
    .language:       OpenCL C
    .language_version:
      - 2
      - 0
    .max_flat_workgroup_size: 256
    .name:           _Z16warp_load_kernelILj256ELj32ELj32ELN6hipcub17WarpLoadAlgorithmE2EiEvPT3_S3_
    .private_segment_fixed_size: 0
    .sgpr_count:     14
    .sgpr_spill_count: 0
    .symbol:         _Z16warp_load_kernelILj256ELj32ELj32ELN6hipcub17WarpLoadAlgorithmE2EiEvPT3_S3_.kd
    .uniform_work_group_size: 1
    .uses_dynamic_stack: false
    .vgpr_count:     60
    .vgpr_spill_count: 0
    .wavefront_size: 64
  - .agpr_count:     0
    .args:
      - .address_space:  global
        .offset:         0
        .size:           8
        .value_kind:     global_buffer
      - .address_space:  global
        .offset:         8
        .size:           8
        .value_kind:     global_buffer
    .group_segment_fixed_size: 32768
    .kernarg_segment_align: 8
    .kernarg_segment_size: 16
    .language:       OpenCL C
    .language_version:
      - 2
      - 0
    .max_flat_workgroup_size: 256
    .name:           _Z16warp_load_kernelILj256ELj32ELj32ELN6hipcub17WarpLoadAlgorithmE3EiEvPT3_S3_
    .private_segment_fixed_size: 0
    .sgpr_count:     14
    .sgpr_spill_count: 0
    .symbol:         _Z16warp_load_kernelILj256ELj32ELj32ELN6hipcub17WarpLoadAlgorithmE3EiEvPT3_S3_.kd
    .uniform_work_group_size: 1
    .uses_dynamic_stack: false
    .vgpr_count:     49
    .vgpr_spill_count: 0
    .wavefront_size: 64
  - .agpr_count:     0
    .args:
      - .address_space:  global
        .offset:         0
        .size:           8
        .value_kind:     global_buffer
      - .address_space:  global
        .offset:         8
        .size:           8
        .value_kind:     global_buffer
    .group_segment_fixed_size: 0
    .kernarg_segment_align: 8
    .kernarg_segment_size: 16
    .language:       OpenCL C
    .language_version:
      - 2
      - 0
    .max_flat_workgroup_size: 256
    .name:           _Z16warp_load_kernelILj256ELj64ELj32ELN6hipcub17WarpLoadAlgorithmE0EiEvPT3_S3_
    .private_segment_fixed_size: 0
    .sgpr_count:     14
    .sgpr_spill_count: 0
    .symbol:         _Z16warp_load_kernelILj256ELj64ELj32ELN6hipcub17WarpLoadAlgorithmE0EiEvPT3_S3_.kd
    .uniform_work_group_size: 1
    .uses_dynamic_stack: false
    .vgpr_count:     68
    .vgpr_spill_count: 0
    .wavefront_size: 64
  - .agpr_count:     0
    .args:
      - .address_space:  global
        .offset:         0
        .size:           8
        .value_kind:     global_buffer
      - .address_space:  global
        .offset:         8
        .size:           8
        .value_kind:     global_buffer
    .group_segment_fixed_size: 0
    .kernarg_segment_align: 8
    .kernarg_segment_size: 16
    .language:       OpenCL C
    .language_version:
      - 2
      - 0
    .max_flat_workgroup_size: 256
    .name:           _Z16warp_load_kernelILj256ELj64ELj32ELN6hipcub17WarpLoadAlgorithmE1EiEvPT3_S3_
    .private_segment_fixed_size: 0
    .sgpr_count:     14
    .sgpr_spill_count: 0
    .symbol:         _Z16warp_load_kernelILj256ELj64ELj32ELN6hipcub17WarpLoadAlgorithmE1EiEvPT3_S3_.kd
    .uniform_work_group_size: 1
    .uses_dynamic_stack: false
    .vgpr_count:     68
    .vgpr_spill_count: 0
    .wavefront_size: 64
  - .agpr_count:     0
    .args:
      - .address_space:  global
        .offset:         0
        .size:           8
        .value_kind:     global_buffer
      - .address_space:  global
        .offset:         8
        .size:           8
        .value_kind:     global_buffer
    .group_segment_fixed_size: 0
    .kernarg_segment_align: 8
    .kernarg_segment_size: 16
    .language:       OpenCL C
    .language_version:
      - 2
      - 0
    .max_flat_workgroup_size: 256
    .name:           _Z16warp_load_kernelILj256ELj64ELj32ELN6hipcub17WarpLoadAlgorithmE2EiEvPT3_S3_
    .private_segment_fixed_size: 0
    .sgpr_count:     14
    .sgpr_spill_count: 0
    .symbol:         _Z16warp_load_kernelILj256ELj64ELj32ELN6hipcub17WarpLoadAlgorithmE2EiEvPT3_S3_.kd
    .uniform_work_group_size: 1
    .uses_dynamic_stack: false
    .vgpr_count:     68
    .vgpr_spill_count: 0
    .wavefront_size: 64
  - .agpr_count:     0
    .args:
      - .address_space:  global
        .offset:         0
        .size:           8
        .value_kind:     global_buffer
      - .address_space:  global
        .offset:         8
        .size:           8
        .value_kind:     global_buffer
    .group_segment_fixed_size: 0
    .kernarg_segment_align: 8
    .kernarg_segment_size: 16
    .language:       OpenCL C
    .language_version:
      - 2
      - 0
    .max_flat_workgroup_size: 256
    .name:           _Z16warp_load_kernelILj256ELj4ELj32ELN6hipcub17WarpLoadAlgorithmE0EdEvPT3_S3_
    .private_segment_fixed_size: 0
    .sgpr_count:     14
    .sgpr_spill_count: 0
    .symbol:         _Z16warp_load_kernelILj256ELj4ELj32ELN6hipcub17WarpLoadAlgorithmE0EdEvPT3_S3_.kd
    .uniform_work_group_size: 1
    .uses_dynamic_stack: false
    .vgpr_count:     16
    .vgpr_spill_count: 0
    .wavefront_size: 64
  - .agpr_count:     0
    .args:
      - .address_space:  global
        .offset:         0
        .size:           8
        .value_kind:     global_buffer
      - .address_space:  global
        .offset:         8
        .size:           8
        .value_kind:     global_buffer
    .group_segment_fixed_size: 0
    .kernarg_segment_align: 8
    .kernarg_segment_size: 16
    .language:       OpenCL C
    .language_version:
      - 2
      - 0
    .max_flat_workgroup_size: 256
    .name:           _Z16warp_load_kernelILj256ELj4ELj32ELN6hipcub17WarpLoadAlgorithmE1EdEvPT3_S3_
    .private_segment_fixed_size: 0
    .sgpr_count:     14
    .sgpr_spill_count: 0
    .symbol:         _Z16warp_load_kernelILj256ELj4ELj32ELN6hipcub17WarpLoadAlgorithmE1EdEvPT3_S3_.kd
    .uniform_work_group_size: 1
    .uses_dynamic_stack: false
    .vgpr_count:     16
    .vgpr_spill_count: 0
    .wavefront_size: 64
  - .agpr_count:     0
    .args:
      - .address_space:  global
        .offset:         0
        .size:           8
        .value_kind:     global_buffer
      - .address_space:  global
        .offset:         8
        .size:           8
        .value_kind:     global_buffer
    .group_segment_fixed_size: 0
    .kernarg_segment_align: 8
    .kernarg_segment_size: 16
    .language:       OpenCL C
    .language_version:
      - 2
      - 0
    .max_flat_workgroup_size: 256
    .name:           _Z16warp_load_kernelILj256ELj4ELj32ELN6hipcub17WarpLoadAlgorithmE2EdEvPT3_S3_
    .private_segment_fixed_size: 0
    .sgpr_count:     14
    .sgpr_spill_count: 0
    .symbol:         _Z16warp_load_kernelILj256ELj4ELj32ELN6hipcub17WarpLoadAlgorithmE2EdEvPT3_S3_.kd
    .uniform_work_group_size: 1
    .uses_dynamic_stack: false
    .vgpr_count:     16
    .vgpr_spill_count: 0
    .wavefront_size: 64
  - .agpr_count:     0
    .args:
      - .address_space:  global
        .offset:         0
        .size:           8
        .value_kind:     global_buffer
      - .address_space:  global
        .offset:         8
        .size:           8
        .value_kind:     global_buffer
    .group_segment_fixed_size: 8192
    .kernarg_segment_align: 8
    .kernarg_segment_size: 16
    .language:       OpenCL C
    .language_version:
      - 2
      - 0
    .max_flat_workgroup_size: 256
    .name:           _Z16warp_load_kernelILj256ELj4ELj32ELN6hipcub17WarpLoadAlgorithmE3EdEvPT3_S3_
    .private_segment_fixed_size: 0
    .sgpr_count:     14
    .sgpr_spill_count: 0
    .symbol:         _Z16warp_load_kernelILj256ELj4ELj32ELN6hipcub17WarpLoadAlgorithmE3EdEvPT3_S3_.kd
    .uniform_work_group_size: 1
    .uses_dynamic_stack: false
    .vgpr_count:     21
    .vgpr_spill_count: 0
    .wavefront_size: 64
  - .agpr_count:     0
    .args:
      - .address_space:  global
        .offset:         0
        .size:           8
        .value_kind:     global_buffer
      - .address_space:  global
        .offset:         8
        .size:           8
        .value_kind:     global_buffer
    .group_segment_fixed_size: 0
    .kernarg_segment_align: 8
    .kernarg_segment_size: 16
    .language:       OpenCL C
    .language_version:
      - 2
      - 0
    .max_flat_workgroup_size: 256
    .name:           _Z16warp_load_kernelILj256ELj8ELj32ELN6hipcub17WarpLoadAlgorithmE0EdEvPT3_S3_
    .private_segment_fixed_size: 0
    .sgpr_count:     14
    .sgpr_spill_count: 0
    .symbol:         _Z16warp_load_kernelILj256ELj8ELj32ELN6hipcub17WarpLoadAlgorithmE0EdEvPT3_S3_.kd
    .uniform_work_group_size: 1
    .uses_dynamic_stack: false
    .vgpr_count:     30
    .vgpr_spill_count: 0
    .wavefront_size: 64
  - .agpr_count:     0
    .args:
      - .address_space:  global
        .offset:         0
        .size:           8
        .value_kind:     global_buffer
      - .address_space:  global
        .offset:         8
        .size:           8
        .value_kind:     global_buffer
    .group_segment_fixed_size: 0
    .kernarg_segment_align: 8
    .kernarg_segment_size: 16
    .language:       OpenCL C
    .language_version:
      - 2
      - 0
    .max_flat_workgroup_size: 256
    .name:           _Z16warp_load_kernelILj256ELj8ELj32ELN6hipcub17WarpLoadAlgorithmE1EdEvPT3_S3_
    .private_segment_fixed_size: 0
    .sgpr_count:     14
    .sgpr_spill_count: 0
    .symbol:         _Z16warp_load_kernelILj256ELj8ELj32ELN6hipcub17WarpLoadAlgorithmE1EdEvPT3_S3_.kd
    .uniform_work_group_size: 1
    .uses_dynamic_stack: false
    .vgpr_count:     30
    .vgpr_spill_count: 0
    .wavefront_size: 64
  - .agpr_count:     0
    .args:
      - .address_space:  global
        .offset:         0
        .size:           8
        .value_kind:     global_buffer
      - .address_space:  global
        .offset:         8
        .size:           8
        .value_kind:     global_buffer
    .group_segment_fixed_size: 0
    .kernarg_segment_align: 8
    .kernarg_segment_size: 16
    .language:       OpenCL C
    .language_version:
      - 2
      - 0
    .max_flat_workgroup_size: 256
    .name:           _Z16warp_load_kernelILj256ELj8ELj32ELN6hipcub17WarpLoadAlgorithmE2EdEvPT3_S3_
    .private_segment_fixed_size: 0
    .sgpr_count:     14
    .sgpr_spill_count: 0
    .symbol:         _Z16warp_load_kernelILj256ELj8ELj32ELN6hipcub17WarpLoadAlgorithmE2EdEvPT3_S3_.kd
    .uniform_work_group_size: 1
    .uses_dynamic_stack: false
    .vgpr_count:     30
    .vgpr_spill_count: 0
    .wavefront_size: 64
  - .agpr_count:     0
    .args:
      - .address_space:  global
        .offset:         0
        .size:           8
        .value_kind:     global_buffer
      - .address_space:  global
        .offset:         8
        .size:           8
        .value_kind:     global_buffer
    .group_segment_fixed_size: 16384
    .kernarg_segment_align: 8
    .kernarg_segment_size: 16
    .language:       OpenCL C
    .language_version:
      - 2
      - 0
    .max_flat_workgroup_size: 256
    .name:           _Z16warp_load_kernelILj256ELj8ELj32ELN6hipcub17WarpLoadAlgorithmE3EdEvPT3_S3_
    .private_segment_fixed_size: 0
    .sgpr_count:     14
    .sgpr_spill_count: 0
    .symbol:         _Z16warp_load_kernelILj256ELj8ELj32ELN6hipcub17WarpLoadAlgorithmE3EdEvPT3_S3_.kd
    .uniform_work_group_size: 1
    .uses_dynamic_stack: false
    .vgpr_count:     36
    .vgpr_spill_count: 0
    .wavefront_size: 64
  - .agpr_count:     0
    .args:
      - .address_space:  global
        .offset:         0
        .size:           8
        .value_kind:     global_buffer
      - .address_space:  global
        .offset:         8
        .size:           8
        .value_kind:     global_buffer
    .group_segment_fixed_size: 0
    .kernarg_segment_align: 8
    .kernarg_segment_size: 16
    .language:       OpenCL C
    .language_version:
      - 2
      - 0
    .max_flat_workgroup_size: 256
    .name:           _Z16warp_load_kernelILj256ELj16ELj32ELN6hipcub17WarpLoadAlgorithmE0EdEvPT3_S3_
    .private_segment_fixed_size: 0
    .sgpr_count:     14
    .sgpr_spill_count: 0
    .symbol:         _Z16warp_load_kernelILj256ELj16ELj32ELN6hipcub17WarpLoadAlgorithmE0EdEvPT3_S3_.kd
    .uniform_work_group_size: 1
    .uses_dynamic_stack: false
    .vgpr_count:     62
    .vgpr_spill_count: 0
    .wavefront_size: 64
  - .agpr_count:     0
    .args:
      - .address_space:  global
        .offset:         0
        .size:           8
        .value_kind:     global_buffer
      - .address_space:  global
        .offset:         8
        .size:           8
        .value_kind:     global_buffer
    .group_segment_fixed_size: 0
    .kernarg_segment_align: 8
    .kernarg_segment_size: 16
    .language:       OpenCL C
    .language_version:
      - 2
      - 0
    .max_flat_workgroup_size: 256
    .name:           _Z16warp_load_kernelILj256ELj16ELj32ELN6hipcub17WarpLoadAlgorithmE1EdEvPT3_S3_
    .private_segment_fixed_size: 0
    .sgpr_count:     14
    .sgpr_spill_count: 0
    .symbol:         _Z16warp_load_kernelILj256ELj16ELj32ELN6hipcub17WarpLoadAlgorithmE1EdEvPT3_S3_.kd
    .uniform_work_group_size: 1
    .uses_dynamic_stack: false
    .vgpr_count:     60
    .vgpr_spill_count: 0
    .wavefront_size: 64
  - .agpr_count:     0
    .args:
      - .address_space:  global
        .offset:         0
        .size:           8
        .value_kind:     global_buffer
      - .address_space:  global
        .offset:         8
        .size:           8
        .value_kind:     global_buffer
    .group_segment_fixed_size: 0
    .kernarg_segment_align: 8
    .kernarg_segment_size: 16
    .language:       OpenCL C
    .language_version:
      - 2
      - 0
    .max_flat_workgroup_size: 256
    .name:           _Z16warp_load_kernelILj256ELj16ELj32ELN6hipcub17WarpLoadAlgorithmE2EdEvPT3_S3_
    .private_segment_fixed_size: 0
    .sgpr_count:     14
    .sgpr_spill_count: 0
    .symbol:         _Z16warp_load_kernelILj256ELj16ELj32ELN6hipcub17WarpLoadAlgorithmE2EdEvPT3_S3_.kd
    .uniform_work_group_size: 1
    .uses_dynamic_stack: false
    .vgpr_count:     62
    .vgpr_spill_count: 0
    .wavefront_size: 64
  - .agpr_count:     0
    .args:
      - .address_space:  global
        .offset:         0
        .size:           8
        .value_kind:     global_buffer
      - .address_space:  global
        .offset:         8
        .size:           8
        .value_kind:     global_buffer
    .group_segment_fixed_size: 32768
    .kernarg_segment_align: 8
    .kernarg_segment_size: 16
    .language:       OpenCL C
    .language_version:
      - 2
      - 0
    .max_flat_workgroup_size: 256
    .name:           _Z16warp_load_kernelILj256ELj16ELj32ELN6hipcub17WarpLoadAlgorithmE3EdEvPT3_S3_
    .private_segment_fixed_size: 0
    .sgpr_count:     14
    .sgpr_spill_count: 0
    .symbol:         _Z16warp_load_kernelILj256ELj16ELj32ELN6hipcub17WarpLoadAlgorithmE3EdEvPT3_S3_.kd
    .uniform_work_group_size: 1
    .uses_dynamic_stack: false
    .vgpr_count:     60
    .vgpr_spill_count: 0
    .wavefront_size: 64
  - .agpr_count:     0
    .args:
      - .address_space:  global
        .offset:         0
        .size:           8
        .value_kind:     global_buffer
      - .address_space:  global
        .offset:         8
        .size:           8
        .value_kind:     global_buffer
    .group_segment_fixed_size: 0
    .kernarg_segment_align: 8
    .kernarg_segment_size: 16
    .language:       OpenCL C
    .language_version:
      - 2
      - 0
    .max_flat_workgroup_size: 256
    .name:           _Z16warp_load_kernelILj256ELj32ELj32ELN6hipcub17WarpLoadAlgorithmE0EdEvPT3_S3_
    .private_segment_fixed_size: 0
    .sgpr_count:     14
    .sgpr_spill_count: 0
    .symbol:         _Z16warp_load_kernelILj256ELj32ELj32ELN6hipcub17WarpLoadAlgorithmE0EdEvPT3_S3_.kd
    .uniform_work_group_size: 1
    .uses_dynamic_stack: false
    .vgpr_count:     96
    .vgpr_spill_count: 0
    .wavefront_size: 64
  - .agpr_count:     0
    .args:
      - .address_space:  global
        .offset:         0
        .size:           8
        .value_kind:     global_buffer
      - .address_space:  global
        .offset:         8
        .size:           8
        .value_kind:     global_buffer
    .group_segment_fixed_size: 0
    .kernarg_segment_align: 8
    .kernarg_segment_size: 16
    .language:       OpenCL C
    .language_version:
      - 2
      - 0
    .max_flat_workgroup_size: 256
    .name:           _Z16warp_load_kernelILj256ELj32ELj32ELN6hipcub17WarpLoadAlgorithmE1EdEvPT3_S3_
    .private_segment_fixed_size: 0
    .sgpr_count:     14
    .sgpr_spill_count: 0
    .symbol:         _Z16warp_load_kernelILj256ELj32ELj32ELN6hipcub17WarpLoadAlgorithmE1EdEvPT3_S3_.kd
    .uniform_work_group_size: 1
    .uses_dynamic_stack: false
    .vgpr_count:     70
    .vgpr_spill_count: 0
    .wavefront_size: 64
  - .agpr_count:     0
    .args:
      - .address_space:  global
        .offset:         0
        .size:           8
        .value_kind:     global_buffer
      - .address_space:  global
        .offset:         8
        .size:           8
        .value_kind:     global_buffer
    .group_segment_fixed_size: 0
    .kernarg_segment_align: 8
    .kernarg_segment_size: 16
    .language:       OpenCL C
    .language_version:
      - 2
      - 0
    .max_flat_workgroup_size: 256
    .name:           _Z16warp_load_kernelILj256ELj32ELj32ELN6hipcub17WarpLoadAlgorithmE2EdEvPT3_S3_
    .private_segment_fixed_size: 0
    .sgpr_count:     14
    .sgpr_spill_count: 0
    .symbol:         _Z16warp_load_kernelILj256ELj32ELj32ELN6hipcub17WarpLoadAlgorithmE2EdEvPT3_S3_.kd
    .uniform_work_group_size: 1
    .uses_dynamic_stack: false
    .vgpr_count:     96
    .vgpr_spill_count: 0
    .wavefront_size: 64
  - .agpr_count:     0
    .args:
      - .address_space:  global
        .offset:         0
        .size:           8
        .value_kind:     global_buffer
      - .address_space:  global
        .offset:         8
        .size:           8
        .value_kind:     global_buffer
    .group_segment_fixed_size: 0
    .kernarg_segment_align: 8
    .kernarg_segment_size: 16
    .language:       OpenCL C
    .language_version:
      - 2
      - 0
    .max_flat_workgroup_size: 256
    .name:           _Z16warp_load_kernelILj256ELj64ELj32ELN6hipcub17WarpLoadAlgorithmE0EdEvPT3_S3_
    .private_segment_fixed_size: 0
    .sgpr_count:     14
    .sgpr_spill_count: 0
    .symbol:         _Z16warp_load_kernelILj256ELj64ELj32ELN6hipcub17WarpLoadAlgorithmE0EdEvPT3_S3_.kd
    .uniform_work_group_size: 1
    .uses_dynamic_stack: false
    .vgpr_count:     152
    .vgpr_spill_count: 0
    .wavefront_size: 64
  - .agpr_count:     0
    .args:
      - .address_space:  global
        .offset:         0
        .size:           8
        .value_kind:     global_buffer
      - .address_space:  global
        .offset:         8
        .size:           8
        .value_kind:     global_buffer
    .group_segment_fixed_size: 0
    .kernarg_segment_align: 8
    .kernarg_segment_size: 16
    .language:       OpenCL C
    .language_version:
      - 2
      - 0
    .max_flat_workgroup_size: 256
    .name:           _Z16warp_load_kernelILj256ELj64ELj32ELN6hipcub17WarpLoadAlgorithmE1EdEvPT3_S3_
    .private_segment_fixed_size: 0
    .sgpr_count:     14
    .sgpr_spill_count: 0
    .symbol:         _Z16warp_load_kernelILj256ELj64ELj32ELN6hipcub17WarpLoadAlgorithmE1EdEvPT3_S3_.kd
    .uniform_work_group_size: 1
    .uses_dynamic_stack: false
    .vgpr_count:     132
    .vgpr_spill_count: 0
    .wavefront_size: 64
  - .agpr_count:     0
    .args:
      - .address_space:  global
        .offset:         0
        .size:           8
        .value_kind:     global_buffer
      - .address_space:  global
        .offset:         8
        .size:           8
        .value_kind:     global_buffer
    .group_segment_fixed_size: 0
    .kernarg_segment_align: 8
    .kernarg_segment_size: 16
    .language:       OpenCL C
    .language_version:
      - 2
      - 0
    .max_flat_workgroup_size: 256
    .name:           _Z16warp_load_kernelILj256ELj64ELj32ELN6hipcub17WarpLoadAlgorithmE2EdEvPT3_S3_
    .private_segment_fixed_size: 0
    .sgpr_count:     14
    .sgpr_spill_count: 0
    .symbol:         _Z16warp_load_kernelILj256ELj64ELj32ELN6hipcub17WarpLoadAlgorithmE2EdEvPT3_S3_.kd
    .uniform_work_group_size: 1
    .uses_dynamic_stack: false
    .vgpr_count:     152
    .vgpr_spill_count: 0
    .wavefront_size: 64
  - .agpr_count:     0
    .args:
      - .address_space:  global
        .offset:         0
        .size:           8
        .value_kind:     global_buffer
      - .address_space:  global
        .offset:         8
        .size:           8
        .value_kind:     global_buffer
    .group_segment_fixed_size: 0
    .kernarg_segment_align: 8
    .kernarg_segment_size: 16
    .language:       OpenCL C
    .language_version:
      - 2
      - 0
    .max_flat_workgroup_size: 256
    .name:           _Z16warp_load_kernelILj256ELj4ELj64ELN6hipcub17WarpLoadAlgorithmE0EiEvPT3_S3_
    .private_segment_fixed_size: 0
    .sgpr_count:     14
    .sgpr_spill_count: 0
    .symbol:         _Z16warp_load_kernelILj256ELj4ELj64ELN6hipcub17WarpLoadAlgorithmE0EiEvPT3_S3_.kd
    .uniform_work_group_size: 1
    .uses_dynamic_stack: false
    .vgpr_count:     12
    .vgpr_spill_count: 0
    .wavefront_size: 64
  - .agpr_count:     0
    .args:
      - .address_space:  global
        .offset:         0
        .size:           8
        .value_kind:     global_buffer
      - .address_space:  global
        .offset:         8
        .size:           8
        .value_kind:     global_buffer
    .group_segment_fixed_size: 0
    .kernarg_segment_align: 8
    .kernarg_segment_size: 16
    .language:       OpenCL C
    .language_version:
      - 2
      - 0
    .max_flat_workgroup_size: 256
    .name:           _Z16warp_load_kernelILj256ELj4ELj64ELN6hipcub17WarpLoadAlgorithmE1EiEvPT3_S3_
    .private_segment_fixed_size: 0
    .sgpr_count:     14
    .sgpr_spill_count: 0
    .symbol:         _Z16warp_load_kernelILj256ELj4ELj64ELN6hipcub17WarpLoadAlgorithmE1EiEvPT3_S3_.kd
    .uniform_work_group_size: 1
    .uses_dynamic_stack: false
    .vgpr_count:     12
    .vgpr_spill_count: 0
    .wavefront_size: 64
  - .agpr_count:     0
    .args:
      - .address_space:  global
        .offset:         0
        .size:           8
        .value_kind:     global_buffer
      - .address_space:  global
        .offset:         8
        .size:           8
        .value_kind:     global_buffer
    .group_segment_fixed_size: 0
    .kernarg_segment_align: 8
    .kernarg_segment_size: 16
    .language:       OpenCL C
    .language_version:
      - 2
      - 0
    .max_flat_workgroup_size: 256
    .name:           _Z16warp_load_kernelILj256ELj4ELj64ELN6hipcub17WarpLoadAlgorithmE2EiEvPT3_S3_
    .private_segment_fixed_size: 0
    .sgpr_count:     14
    .sgpr_spill_count: 0
    .symbol:         _Z16warp_load_kernelILj256ELj4ELj64ELN6hipcub17WarpLoadAlgorithmE2EiEvPT3_S3_.kd
    .uniform_work_group_size: 1
    .uses_dynamic_stack: false
    .vgpr_count:     12
    .vgpr_spill_count: 0
    .wavefront_size: 64
  - .agpr_count:     0
    .args:
      - .address_space:  global
        .offset:         0
        .size:           8
        .value_kind:     global_buffer
      - .address_space:  global
        .offset:         8
        .size:           8
        .value_kind:     global_buffer
    .group_segment_fixed_size: 4096
    .kernarg_segment_align: 8
    .kernarg_segment_size: 16
    .language:       OpenCL C
    .language_version:
      - 2
      - 0
    .max_flat_workgroup_size: 256
    .name:           _Z16warp_load_kernelILj256ELj4ELj64ELN6hipcub17WarpLoadAlgorithmE3EiEvPT3_S3_
    .private_segment_fixed_size: 0
    .sgpr_count:     14
    .sgpr_spill_count: 0
    .symbol:         _Z16warp_load_kernelILj256ELj4ELj64ELN6hipcub17WarpLoadAlgorithmE3EiEvPT3_S3_.kd
    .uniform_work_group_size: 1
    .uses_dynamic_stack: false
    .vgpr_count:     16
    .vgpr_spill_count: 0
    .wavefront_size: 64
  - .agpr_count:     0
    .args:
      - .address_space:  global
        .offset:         0
        .size:           8
        .value_kind:     global_buffer
      - .address_space:  global
        .offset:         8
        .size:           8
        .value_kind:     global_buffer
    .group_segment_fixed_size: 0
    .kernarg_segment_align: 8
    .kernarg_segment_size: 16
    .language:       OpenCL C
    .language_version:
      - 2
      - 0
    .max_flat_workgroup_size: 256
    .name:           _Z16warp_load_kernelILj256ELj8ELj64ELN6hipcub17WarpLoadAlgorithmE0EiEvPT3_S3_
    .private_segment_fixed_size: 0
    .sgpr_count:     14
    .sgpr_spill_count: 0
    .symbol:         _Z16warp_load_kernelILj256ELj8ELj64ELN6hipcub17WarpLoadAlgorithmE0EiEvPT3_S3_.kd
    .uniform_work_group_size: 1
    .uses_dynamic_stack: false
    .vgpr_count:     18
    .vgpr_spill_count: 0
    .wavefront_size: 64
  - .agpr_count:     0
    .args:
      - .address_space:  global
        .offset:         0
        .size:           8
        .value_kind:     global_buffer
      - .address_space:  global
        .offset:         8
        .size:           8
        .value_kind:     global_buffer
    .group_segment_fixed_size: 0
    .kernarg_segment_align: 8
    .kernarg_segment_size: 16
    .language:       OpenCL C
    .language_version:
      - 2
      - 0
    .max_flat_workgroup_size: 256
    .name:           _Z16warp_load_kernelILj256ELj8ELj64ELN6hipcub17WarpLoadAlgorithmE1EiEvPT3_S3_
    .private_segment_fixed_size: 0
    .sgpr_count:     14
    .sgpr_spill_count: 0
    .symbol:         _Z16warp_load_kernelILj256ELj8ELj64ELN6hipcub17WarpLoadAlgorithmE1EiEvPT3_S3_.kd
    .uniform_work_group_size: 1
    .uses_dynamic_stack: false
    .vgpr_count:     18
    .vgpr_spill_count: 0
    .wavefront_size: 64
  - .agpr_count:     0
    .args:
      - .address_space:  global
        .offset:         0
        .size:           8
        .value_kind:     global_buffer
      - .address_space:  global
        .offset:         8
        .size:           8
        .value_kind:     global_buffer
    .group_segment_fixed_size: 0
    .kernarg_segment_align: 8
    .kernarg_segment_size: 16
    .language:       OpenCL C
    .language_version:
      - 2
      - 0
    .max_flat_workgroup_size: 256
    .name:           _Z16warp_load_kernelILj256ELj8ELj64ELN6hipcub17WarpLoadAlgorithmE2EiEvPT3_S3_
    .private_segment_fixed_size: 0
    .sgpr_count:     14
    .sgpr_spill_count: 0
    .symbol:         _Z16warp_load_kernelILj256ELj8ELj64ELN6hipcub17WarpLoadAlgorithmE2EiEvPT3_S3_.kd
    .uniform_work_group_size: 1
    .uses_dynamic_stack: false
    .vgpr_count:     18
    .vgpr_spill_count: 0
    .wavefront_size: 64
  - .agpr_count:     0
    .args:
      - .address_space:  global
        .offset:         0
        .size:           8
        .value_kind:     global_buffer
      - .address_space:  global
        .offset:         8
        .size:           8
        .value_kind:     global_buffer
    .group_segment_fixed_size: 8192
    .kernarg_segment_align: 8
    .kernarg_segment_size: 16
    .language:       OpenCL C
    .language_version:
      - 2
      - 0
    .max_flat_workgroup_size: 256
    .name:           _Z16warp_load_kernelILj256ELj8ELj64ELN6hipcub17WarpLoadAlgorithmE3EiEvPT3_S3_
    .private_segment_fixed_size: 0
    .sgpr_count:     14
    .sgpr_spill_count: 0
    .symbol:         _Z16warp_load_kernelILj256ELj8ELj64ELN6hipcub17WarpLoadAlgorithmE3EiEvPT3_S3_.kd
    .uniform_work_group_size: 1
    .uses_dynamic_stack: false
    .vgpr_count:     23
    .vgpr_spill_count: 0
    .wavefront_size: 64
  - .agpr_count:     0
    .args:
      - .address_space:  global
        .offset:         0
        .size:           8
        .value_kind:     global_buffer
      - .address_space:  global
        .offset:         8
        .size:           8
        .value_kind:     global_buffer
    .group_segment_fixed_size: 0
    .kernarg_segment_align: 8
    .kernarg_segment_size: 16
    .language:       OpenCL C
    .language_version:
      - 2
      - 0
    .max_flat_workgroup_size: 256
    .name:           _Z16warp_load_kernelILj256ELj16ELj64ELN6hipcub17WarpLoadAlgorithmE0EiEvPT3_S3_
    .private_segment_fixed_size: 0
    .sgpr_count:     14
    .sgpr_spill_count: 0
    .symbol:         _Z16warp_load_kernelILj256ELj16ELj64ELN6hipcub17WarpLoadAlgorithmE0EiEvPT3_S3_.kd
    .uniform_work_group_size: 1
    .uses_dynamic_stack: false
    .vgpr_count:     42
    .vgpr_spill_count: 0
    .wavefront_size: 64
  - .agpr_count:     0
    .args:
      - .address_space:  global
        .offset:         0
        .size:           8
        .value_kind:     global_buffer
      - .address_space:  global
        .offset:         8
        .size:           8
        .value_kind:     global_buffer
    .group_segment_fixed_size: 0
    .kernarg_segment_align: 8
    .kernarg_segment_size: 16
    .language:       OpenCL C
    .language_version:
      - 2
      - 0
    .max_flat_workgroup_size: 256
    .name:           _Z16warp_load_kernelILj256ELj16ELj64ELN6hipcub17WarpLoadAlgorithmE1EiEvPT3_S3_
    .private_segment_fixed_size: 0
    .sgpr_count:     14
    .sgpr_spill_count: 0
    .symbol:         _Z16warp_load_kernelILj256ELj16ELj64ELN6hipcub17WarpLoadAlgorithmE1EiEvPT3_S3_.kd
    .uniform_work_group_size: 1
    .uses_dynamic_stack: false
    .vgpr_count:     42
    .vgpr_spill_count: 0
    .wavefront_size: 64
  - .agpr_count:     0
    .args:
      - .address_space:  global
        .offset:         0
        .size:           8
        .value_kind:     global_buffer
      - .address_space:  global
        .offset:         8
        .size:           8
        .value_kind:     global_buffer
    .group_segment_fixed_size: 0
    .kernarg_segment_align: 8
    .kernarg_segment_size: 16
    .language:       OpenCL C
    .language_version:
      - 2
      - 0
    .max_flat_workgroup_size: 256
    .name:           _Z16warp_load_kernelILj256ELj16ELj64ELN6hipcub17WarpLoadAlgorithmE2EiEvPT3_S3_
    .private_segment_fixed_size: 0
    .sgpr_count:     14
    .sgpr_spill_count: 0
    .symbol:         _Z16warp_load_kernelILj256ELj16ELj64ELN6hipcub17WarpLoadAlgorithmE2EiEvPT3_S3_.kd
    .uniform_work_group_size: 1
    .uses_dynamic_stack: false
    .vgpr_count:     42
    .vgpr_spill_count: 0
    .wavefront_size: 64
  - .agpr_count:     0
    .args:
      - .address_space:  global
        .offset:         0
        .size:           8
        .value_kind:     global_buffer
      - .address_space:  global
        .offset:         8
        .size:           8
        .value_kind:     global_buffer
    .group_segment_fixed_size: 16384
    .kernarg_segment_align: 8
    .kernarg_segment_size: 16
    .language:       OpenCL C
    .language_version:
      - 2
      - 0
    .max_flat_workgroup_size: 256
    .name:           _Z16warp_load_kernelILj256ELj16ELj64ELN6hipcub17WarpLoadAlgorithmE3EiEvPT3_S3_
    .private_segment_fixed_size: 0
    .sgpr_count:     14
    .sgpr_spill_count: 0
    .symbol:         _Z16warp_load_kernelILj256ELj16ELj64ELN6hipcub17WarpLoadAlgorithmE3EiEvPT3_S3_.kd
    .uniform_work_group_size: 1
    .uses_dynamic_stack: false
    .vgpr_count:     58
    .vgpr_spill_count: 0
    .wavefront_size: 64
  - .agpr_count:     0
    .args:
      - .address_space:  global
        .offset:         0
        .size:           8
        .value_kind:     global_buffer
      - .address_space:  global
        .offset:         8
        .size:           8
        .value_kind:     global_buffer
    .group_segment_fixed_size: 0
    .kernarg_segment_align: 8
    .kernarg_segment_size: 16
    .language:       OpenCL C
    .language_version:
      - 2
      - 0
    .max_flat_workgroup_size: 256
    .name:           _Z16warp_load_kernelILj256ELj32ELj64ELN6hipcub17WarpLoadAlgorithmE0EiEvPT3_S3_
    .private_segment_fixed_size: 0
    .sgpr_count:     14
    .sgpr_spill_count: 0
    .symbol:         _Z16warp_load_kernelILj256ELj32ELj64ELN6hipcub17WarpLoadAlgorithmE0EiEvPT3_S3_.kd
    .uniform_work_group_size: 1
    .uses_dynamic_stack: false
    .vgpr_count:     60
    .vgpr_spill_count: 0
    .wavefront_size: 64
  - .agpr_count:     0
    .args:
      - .address_space:  global
        .offset:         0
        .size:           8
        .value_kind:     global_buffer
      - .address_space:  global
        .offset:         8
        .size:           8
        .value_kind:     global_buffer
    .group_segment_fixed_size: 0
    .kernarg_segment_align: 8
    .kernarg_segment_size: 16
    .language:       OpenCL C
    .language_version:
      - 2
      - 0
    .max_flat_workgroup_size: 256
    .name:           _Z16warp_load_kernelILj256ELj32ELj64ELN6hipcub17WarpLoadAlgorithmE1EiEvPT3_S3_
    .private_segment_fixed_size: 0
    .sgpr_count:     14
    .sgpr_spill_count: 0
    .symbol:         _Z16warp_load_kernelILj256ELj32ELj64ELN6hipcub17WarpLoadAlgorithmE1EiEvPT3_S3_.kd
    .uniform_work_group_size: 1
    .uses_dynamic_stack: false
    .vgpr_count:     53
    .vgpr_spill_count: 0
    .wavefront_size: 64
  - .agpr_count:     0
    .args:
      - .address_space:  global
        .offset:         0
        .size:           8
        .value_kind:     global_buffer
      - .address_space:  global
        .offset:         8
        .size:           8
        .value_kind:     global_buffer
    .group_segment_fixed_size: 0
    .kernarg_segment_align: 8
    .kernarg_segment_size: 16
    .language:       OpenCL C
    .language_version:
      - 2
      - 0
    .max_flat_workgroup_size: 256
    .name:           _Z16warp_load_kernelILj256ELj32ELj64ELN6hipcub17WarpLoadAlgorithmE2EiEvPT3_S3_
    .private_segment_fixed_size: 0
    .sgpr_count:     14
    .sgpr_spill_count: 0
    .symbol:         _Z16warp_load_kernelILj256ELj32ELj64ELN6hipcub17WarpLoadAlgorithmE2EiEvPT3_S3_.kd
    .uniform_work_group_size: 1
    .uses_dynamic_stack: false
    .vgpr_count:     60
    .vgpr_spill_count: 0
    .wavefront_size: 64
  - .agpr_count:     0
    .args:
      - .address_space:  global
        .offset:         0
        .size:           8
        .value_kind:     global_buffer
      - .address_space:  global
        .offset:         8
        .size:           8
        .value_kind:     global_buffer
    .group_segment_fixed_size: 32768
    .kernarg_segment_align: 8
    .kernarg_segment_size: 16
    .language:       OpenCL C
    .language_version:
      - 2
      - 0
    .max_flat_workgroup_size: 256
    .name:           _Z16warp_load_kernelILj256ELj32ELj64ELN6hipcub17WarpLoadAlgorithmE3EiEvPT3_S3_
    .private_segment_fixed_size: 0
    .sgpr_count:     14
    .sgpr_spill_count: 0
    .symbol:         _Z16warp_load_kernelILj256ELj32ELj64ELN6hipcub17WarpLoadAlgorithmE3EiEvPT3_S3_.kd
    .uniform_work_group_size: 1
    .uses_dynamic_stack: false
    .vgpr_count:     44
    .vgpr_spill_count: 0
    .wavefront_size: 64
  - .agpr_count:     0
    .args:
      - .address_space:  global
        .offset:         0
        .size:           8
        .value_kind:     global_buffer
      - .address_space:  global
        .offset:         8
        .size:           8
        .value_kind:     global_buffer
    .group_segment_fixed_size: 0
    .kernarg_segment_align: 8
    .kernarg_segment_size: 16
    .language:       OpenCL C
    .language_version:
      - 2
      - 0
    .max_flat_workgroup_size: 256
    .name:           _Z16warp_load_kernelILj256ELj64ELj64ELN6hipcub17WarpLoadAlgorithmE0EiEvPT3_S3_
    .private_segment_fixed_size: 0
    .sgpr_count:     14
    .sgpr_spill_count: 0
    .symbol:         _Z16warp_load_kernelILj256ELj64ELj64ELN6hipcub17WarpLoadAlgorithmE0EiEvPT3_S3_.kd
    .uniform_work_group_size: 1
    .uses_dynamic_stack: false
    .vgpr_count:     68
    .vgpr_spill_count: 0
    .wavefront_size: 64
  - .agpr_count:     0
    .args:
      - .address_space:  global
        .offset:         0
        .size:           8
        .value_kind:     global_buffer
      - .address_space:  global
        .offset:         8
        .size:           8
        .value_kind:     global_buffer
    .group_segment_fixed_size: 0
    .kernarg_segment_align: 8
    .kernarg_segment_size: 16
    .language:       OpenCL C
    .language_version:
      - 2
      - 0
    .max_flat_workgroup_size: 256
    .name:           _Z16warp_load_kernelILj256ELj64ELj64ELN6hipcub17WarpLoadAlgorithmE1EiEvPT3_S3_
    .private_segment_fixed_size: 0
    .sgpr_count:     14
    .sgpr_spill_count: 0
    .symbol:         _Z16warp_load_kernelILj256ELj64ELj64ELN6hipcub17WarpLoadAlgorithmE1EiEvPT3_S3_.kd
    .uniform_work_group_size: 1
    .uses_dynamic_stack: false
    .vgpr_count:     70
    .vgpr_spill_count: 0
    .wavefront_size: 64
  - .agpr_count:     0
    .args:
      - .address_space:  global
        .offset:         0
        .size:           8
        .value_kind:     global_buffer
      - .address_space:  global
        .offset:         8
        .size:           8
        .value_kind:     global_buffer
    .group_segment_fixed_size: 0
    .kernarg_segment_align: 8
    .kernarg_segment_size: 16
    .language:       OpenCL C
    .language_version:
      - 2
      - 0
    .max_flat_workgroup_size: 256
    .name:           _Z16warp_load_kernelILj256ELj64ELj64ELN6hipcub17WarpLoadAlgorithmE2EiEvPT3_S3_
    .private_segment_fixed_size: 0
    .sgpr_count:     14
    .sgpr_spill_count: 0
    .symbol:         _Z16warp_load_kernelILj256ELj64ELj64ELN6hipcub17WarpLoadAlgorithmE2EiEvPT3_S3_.kd
    .uniform_work_group_size: 1
    .uses_dynamic_stack: false
    .vgpr_count:     68
    .vgpr_spill_count: 0
    .wavefront_size: 64
  - .agpr_count:     0
    .args:
      - .address_space:  global
        .offset:         0
        .size:           8
        .value_kind:     global_buffer
      - .address_space:  global
        .offset:         8
        .size:           8
        .value_kind:     global_buffer
    .group_segment_fixed_size: 0
    .kernarg_segment_align: 8
    .kernarg_segment_size: 16
    .language:       OpenCL C
    .language_version:
      - 2
      - 0
    .max_flat_workgroup_size: 256
    .name:           _Z16warp_load_kernelILj256ELj4ELj64ELN6hipcub17WarpLoadAlgorithmE0EdEvPT3_S3_
    .private_segment_fixed_size: 0
    .sgpr_count:     14
    .sgpr_spill_count: 0
    .symbol:         _Z16warp_load_kernelILj256ELj4ELj64ELN6hipcub17WarpLoadAlgorithmE0EdEvPT3_S3_.kd
    .uniform_work_group_size: 1
    .uses_dynamic_stack: false
    .vgpr_count:     16
    .vgpr_spill_count: 0
    .wavefront_size: 64
  - .agpr_count:     0
    .args:
      - .address_space:  global
        .offset:         0
        .size:           8
        .value_kind:     global_buffer
      - .address_space:  global
        .offset:         8
        .size:           8
        .value_kind:     global_buffer
    .group_segment_fixed_size: 0
    .kernarg_segment_align: 8
    .kernarg_segment_size: 16
    .language:       OpenCL C
    .language_version:
      - 2
      - 0
    .max_flat_workgroup_size: 256
    .name:           _Z16warp_load_kernelILj256ELj4ELj64ELN6hipcub17WarpLoadAlgorithmE1EdEvPT3_S3_
    .private_segment_fixed_size: 0
    .sgpr_count:     14
    .sgpr_spill_count: 0
    .symbol:         _Z16warp_load_kernelILj256ELj4ELj64ELN6hipcub17WarpLoadAlgorithmE1EdEvPT3_S3_.kd
    .uniform_work_group_size: 1
    .uses_dynamic_stack: false
    .vgpr_count:     16
    .vgpr_spill_count: 0
    .wavefront_size: 64
  - .agpr_count:     0
    .args:
      - .address_space:  global
        .offset:         0
        .size:           8
        .value_kind:     global_buffer
      - .address_space:  global
        .offset:         8
        .size:           8
        .value_kind:     global_buffer
    .group_segment_fixed_size: 0
    .kernarg_segment_align: 8
    .kernarg_segment_size: 16
    .language:       OpenCL C
    .language_version:
      - 2
      - 0
    .max_flat_workgroup_size: 256
    .name:           _Z16warp_load_kernelILj256ELj4ELj64ELN6hipcub17WarpLoadAlgorithmE2EdEvPT3_S3_
    .private_segment_fixed_size: 0
    .sgpr_count:     14
    .sgpr_spill_count: 0
    .symbol:         _Z16warp_load_kernelILj256ELj4ELj64ELN6hipcub17WarpLoadAlgorithmE2EdEvPT3_S3_.kd
    .uniform_work_group_size: 1
    .uses_dynamic_stack: false
    .vgpr_count:     16
    .vgpr_spill_count: 0
    .wavefront_size: 64
  - .agpr_count:     0
    .args:
      - .address_space:  global
        .offset:         0
        .size:           8
        .value_kind:     global_buffer
      - .address_space:  global
        .offset:         8
        .size:           8
        .value_kind:     global_buffer
    .group_segment_fixed_size: 8192
    .kernarg_segment_align: 8
    .kernarg_segment_size: 16
    .language:       OpenCL C
    .language_version:
      - 2
      - 0
    .max_flat_workgroup_size: 256
    .name:           _Z16warp_load_kernelILj256ELj4ELj64ELN6hipcub17WarpLoadAlgorithmE3EdEvPT3_S3_
    .private_segment_fixed_size: 0
    .sgpr_count:     14
    .sgpr_spill_count: 0
    .symbol:         _Z16warp_load_kernelILj256ELj4ELj64ELN6hipcub17WarpLoadAlgorithmE3EdEvPT3_S3_.kd
    .uniform_work_group_size: 1
    .uses_dynamic_stack: false
    .vgpr_count:     21
    .vgpr_spill_count: 0
    .wavefront_size: 64
  - .agpr_count:     0
    .args:
      - .address_space:  global
        .offset:         0
        .size:           8
        .value_kind:     global_buffer
      - .address_space:  global
        .offset:         8
        .size:           8
        .value_kind:     global_buffer
    .group_segment_fixed_size: 0
    .kernarg_segment_align: 8
    .kernarg_segment_size: 16
    .language:       OpenCL C
    .language_version:
      - 2
      - 0
    .max_flat_workgroup_size: 256
    .name:           _Z16warp_load_kernelILj256ELj8ELj64ELN6hipcub17WarpLoadAlgorithmE0EdEvPT3_S3_
    .private_segment_fixed_size: 0
    .sgpr_count:     14
    .sgpr_spill_count: 0
    .symbol:         _Z16warp_load_kernelILj256ELj8ELj64ELN6hipcub17WarpLoadAlgorithmE0EdEvPT3_S3_.kd
    .uniform_work_group_size: 1
    .uses_dynamic_stack: false
    .vgpr_count:     30
    .vgpr_spill_count: 0
    .wavefront_size: 64
  - .agpr_count:     0
    .args:
      - .address_space:  global
        .offset:         0
        .size:           8
        .value_kind:     global_buffer
      - .address_space:  global
        .offset:         8
        .size:           8
        .value_kind:     global_buffer
    .group_segment_fixed_size: 0
    .kernarg_segment_align: 8
    .kernarg_segment_size: 16
    .language:       OpenCL C
    .language_version:
      - 2
      - 0
    .max_flat_workgroup_size: 256
    .name:           _Z16warp_load_kernelILj256ELj8ELj64ELN6hipcub17WarpLoadAlgorithmE1EdEvPT3_S3_
    .private_segment_fixed_size: 0
    .sgpr_count:     14
    .sgpr_spill_count: 0
    .symbol:         _Z16warp_load_kernelILj256ELj8ELj64ELN6hipcub17WarpLoadAlgorithmE1EdEvPT3_S3_.kd
    .uniform_work_group_size: 1
    .uses_dynamic_stack: false
    .vgpr_count:     30
    .vgpr_spill_count: 0
    .wavefront_size: 64
  - .agpr_count:     0
    .args:
      - .address_space:  global
        .offset:         0
        .size:           8
        .value_kind:     global_buffer
      - .address_space:  global
        .offset:         8
        .size:           8
        .value_kind:     global_buffer
    .group_segment_fixed_size: 0
    .kernarg_segment_align: 8
    .kernarg_segment_size: 16
    .language:       OpenCL C
    .language_version:
      - 2
      - 0
    .max_flat_workgroup_size: 256
    .name:           _Z16warp_load_kernelILj256ELj8ELj64ELN6hipcub17WarpLoadAlgorithmE2EdEvPT3_S3_
    .private_segment_fixed_size: 0
    .sgpr_count:     14
    .sgpr_spill_count: 0
    .symbol:         _Z16warp_load_kernelILj256ELj8ELj64ELN6hipcub17WarpLoadAlgorithmE2EdEvPT3_S3_.kd
    .uniform_work_group_size: 1
    .uses_dynamic_stack: false
    .vgpr_count:     30
    .vgpr_spill_count: 0
    .wavefront_size: 64
  - .agpr_count:     0
    .args:
      - .address_space:  global
        .offset:         0
        .size:           8
        .value_kind:     global_buffer
      - .address_space:  global
        .offset:         8
        .size:           8
        .value_kind:     global_buffer
    .group_segment_fixed_size: 16384
    .kernarg_segment_align: 8
    .kernarg_segment_size: 16
    .language:       OpenCL C
    .language_version:
      - 2
      - 0
    .max_flat_workgroup_size: 256
    .name:           _Z16warp_load_kernelILj256ELj8ELj64ELN6hipcub17WarpLoadAlgorithmE3EdEvPT3_S3_
    .private_segment_fixed_size: 0
    .sgpr_count:     14
    .sgpr_spill_count: 0
    .symbol:         _Z16warp_load_kernelILj256ELj8ELj64ELN6hipcub17WarpLoadAlgorithmE3EdEvPT3_S3_.kd
    .uniform_work_group_size: 1
    .uses_dynamic_stack: false
    .vgpr_count:     36
    .vgpr_spill_count: 0
    .wavefront_size: 64
  - .agpr_count:     0
    .args:
      - .address_space:  global
        .offset:         0
        .size:           8
        .value_kind:     global_buffer
      - .address_space:  global
        .offset:         8
        .size:           8
        .value_kind:     global_buffer
    .group_segment_fixed_size: 0
    .kernarg_segment_align: 8
    .kernarg_segment_size: 16
    .language:       OpenCL C
    .language_version:
      - 2
      - 0
    .max_flat_workgroup_size: 256
    .name:           _Z16warp_load_kernelILj256ELj16ELj64ELN6hipcub17WarpLoadAlgorithmE0EdEvPT3_S3_
    .private_segment_fixed_size: 0
    .sgpr_count:     14
    .sgpr_spill_count: 0
    .symbol:         _Z16warp_load_kernelILj256ELj16ELj64ELN6hipcub17WarpLoadAlgorithmE0EdEvPT3_S3_.kd
    .uniform_work_group_size: 1
    .uses_dynamic_stack: false
    .vgpr_count:     62
    .vgpr_spill_count: 0
    .wavefront_size: 64
  - .agpr_count:     0
    .args:
      - .address_space:  global
        .offset:         0
        .size:           8
        .value_kind:     global_buffer
      - .address_space:  global
        .offset:         8
        .size:           8
        .value_kind:     global_buffer
    .group_segment_fixed_size: 0
    .kernarg_segment_align: 8
    .kernarg_segment_size: 16
    .language:       OpenCL C
    .language_version:
      - 2
      - 0
    .max_flat_workgroup_size: 256
    .name:           _Z16warp_load_kernelILj256ELj16ELj64ELN6hipcub17WarpLoadAlgorithmE1EdEvPT3_S3_
    .private_segment_fixed_size: 0
    .sgpr_count:     14
    .sgpr_spill_count: 0
    .symbol:         _Z16warp_load_kernelILj256ELj16ELj64ELN6hipcub17WarpLoadAlgorithmE1EdEvPT3_S3_.kd
    .uniform_work_group_size: 1
    .uses_dynamic_stack: false
    .vgpr_count:     60
    .vgpr_spill_count: 0
    .wavefront_size: 64
  - .agpr_count:     0
    .args:
      - .address_space:  global
        .offset:         0
        .size:           8
        .value_kind:     global_buffer
      - .address_space:  global
        .offset:         8
        .size:           8
        .value_kind:     global_buffer
    .group_segment_fixed_size: 0
    .kernarg_segment_align: 8
    .kernarg_segment_size: 16
    .language:       OpenCL C
    .language_version:
      - 2
      - 0
    .max_flat_workgroup_size: 256
    .name:           _Z16warp_load_kernelILj256ELj16ELj64ELN6hipcub17WarpLoadAlgorithmE2EdEvPT3_S3_
    .private_segment_fixed_size: 0
    .sgpr_count:     14
    .sgpr_spill_count: 0
    .symbol:         _Z16warp_load_kernelILj256ELj16ELj64ELN6hipcub17WarpLoadAlgorithmE2EdEvPT3_S3_.kd
    .uniform_work_group_size: 1
    .uses_dynamic_stack: false
    .vgpr_count:     62
    .vgpr_spill_count: 0
    .wavefront_size: 64
  - .agpr_count:     0
    .args:
      - .address_space:  global
        .offset:         0
        .size:           8
        .value_kind:     global_buffer
      - .address_space:  global
        .offset:         8
        .size:           8
        .value_kind:     global_buffer
    .group_segment_fixed_size: 0
    .kernarg_segment_align: 8
    .kernarg_segment_size: 16
    .language:       OpenCL C
    .language_version:
      - 2
      - 0
    .max_flat_workgroup_size: 256
    .name:           _Z16warp_load_kernelILj256ELj32ELj64ELN6hipcub17WarpLoadAlgorithmE0EdEvPT3_S3_
    .private_segment_fixed_size: 0
    .sgpr_count:     14
    .sgpr_spill_count: 0
    .symbol:         _Z16warp_load_kernelILj256ELj32ELj64ELN6hipcub17WarpLoadAlgorithmE0EdEvPT3_S3_.kd
    .uniform_work_group_size: 1
    .uses_dynamic_stack: false
    .vgpr_count:     96
    .vgpr_spill_count: 0
    .wavefront_size: 64
  - .agpr_count:     0
    .args:
      - .address_space:  global
        .offset:         0
        .size:           8
        .value_kind:     global_buffer
      - .address_space:  global
        .offset:         8
        .size:           8
        .value_kind:     global_buffer
    .group_segment_fixed_size: 0
    .kernarg_segment_align: 8
    .kernarg_segment_size: 16
    .language:       OpenCL C
    .language_version:
      - 2
      - 0
    .max_flat_workgroup_size: 256
    .name:           _Z16warp_load_kernelILj256ELj32ELj64ELN6hipcub17WarpLoadAlgorithmE1EdEvPT3_S3_
    .private_segment_fixed_size: 0
    .sgpr_count:     14
    .sgpr_spill_count: 0
    .symbol:         _Z16warp_load_kernelILj256ELj32ELj64ELN6hipcub17WarpLoadAlgorithmE1EdEvPT3_S3_.kd
    .uniform_work_group_size: 1
    .uses_dynamic_stack: false
    .vgpr_count:     72
    .vgpr_spill_count: 0
    .wavefront_size: 64
  - .agpr_count:     0
    .args:
      - .address_space:  global
        .offset:         0
        .size:           8
        .value_kind:     global_buffer
      - .address_space:  global
        .offset:         8
        .size:           8
        .value_kind:     global_buffer
    .group_segment_fixed_size: 0
    .kernarg_segment_align: 8
    .kernarg_segment_size: 16
    .language:       OpenCL C
    .language_version:
      - 2
      - 0
    .max_flat_workgroup_size: 256
    .name:           _Z16warp_load_kernelILj256ELj32ELj64ELN6hipcub17WarpLoadAlgorithmE2EdEvPT3_S3_
    .private_segment_fixed_size: 0
    .sgpr_count:     14
    .sgpr_spill_count: 0
    .symbol:         _Z16warp_load_kernelILj256ELj32ELj64ELN6hipcub17WarpLoadAlgorithmE2EdEvPT3_S3_.kd
    .uniform_work_group_size: 1
    .uses_dynamic_stack: false
    .vgpr_count:     96
    .vgpr_spill_count: 0
    .wavefront_size: 64
  - .agpr_count:     0
    .args:
      - .address_space:  global
        .offset:         0
        .size:           8
        .value_kind:     global_buffer
      - .address_space:  global
        .offset:         8
        .size:           8
        .value_kind:     global_buffer
    .group_segment_fixed_size: 0
    .kernarg_segment_align: 8
    .kernarg_segment_size: 16
    .language:       OpenCL C
    .language_version:
      - 2
      - 0
    .max_flat_workgroup_size: 256
    .name:           _Z16warp_load_kernelILj256ELj64ELj64ELN6hipcub17WarpLoadAlgorithmE0EdEvPT3_S3_
    .private_segment_fixed_size: 0
    .sgpr_count:     14
    .sgpr_spill_count: 0
    .symbol:         _Z16warp_load_kernelILj256ELj64ELj64ELN6hipcub17WarpLoadAlgorithmE0EdEvPT3_S3_.kd
    .uniform_work_group_size: 1
    .uses_dynamic_stack: false
    .vgpr_count:     152
    .vgpr_spill_count: 0
    .wavefront_size: 64
  - .agpr_count:     0
    .args:
      - .address_space:  global
        .offset:         0
        .size:           8
        .value_kind:     global_buffer
      - .address_space:  global
        .offset:         8
        .size:           8
        .value_kind:     global_buffer
    .group_segment_fixed_size: 0
    .kernarg_segment_align: 8
    .kernarg_segment_size: 16
    .language:       OpenCL C
    .language_version:
      - 2
      - 0
    .max_flat_workgroup_size: 256
    .name:           _Z16warp_load_kernelILj256ELj64ELj64ELN6hipcub17WarpLoadAlgorithmE1EdEvPT3_S3_
    .private_segment_fixed_size: 0
    .sgpr_count:     14
    .sgpr_spill_count: 0
    .symbol:         _Z16warp_load_kernelILj256ELj64ELj64ELN6hipcub17WarpLoadAlgorithmE1EdEvPT3_S3_.kd
    .uniform_work_group_size: 1
    .uses_dynamic_stack: false
    .vgpr_count:     134
    .vgpr_spill_count: 0
    .wavefront_size: 64
  - .agpr_count:     0
    .args:
      - .address_space:  global
        .offset:         0
        .size:           8
        .value_kind:     global_buffer
      - .address_space:  global
        .offset:         8
        .size:           8
        .value_kind:     global_buffer
    .group_segment_fixed_size: 0
    .kernarg_segment_align: 8
    .kernarg_segment_size: 16
    .language:       OpenCL C
    .language_version:
      - 2
      - 0
    .max_flat_workgroup_size: 256
    .name:           _Z16warp_load_kernelILj256ELj64ELj64ELN6hipcub17WarpLoadAlgorithmE2EdEvPT3_S3_
    .private_segment_fixed_size: 0
    .sgpr_count:     14
    .sgpr_spill_count: 0
    .symbol:         _Z16warp_load_kernelILj256ELj64ELj64ELN6hipcub17WarpLoadAlgorithmE2EdEvPT3_S3_.kd
    .uniform_work_group_size: 1
    .uses_dynamic_stack: false
    .vgpr_count:     152
    .vgpr_spill_count: 0
    .wavefront_size: 64
amdhsa.target:   amdgcn-amd-amdhsa--gfx942
amdhsa.version:
  - 1
  - 2
...

	.end_amdgpu_metadata
